;; amdgpu-corpus repo=ROCm/rocFFT kind=compiled arch=gfx950 opt=O3
	.text
	.amdgcn_target "amdgcn-amd-amdhsa--gfx950"
	.amdhsa_code_object_version 6
	.protected	fft_rtc_fwd_len1156_factors_17_2_17_2_wgs_204_tpt_68_halfLds_dp_ip_CI_unitstride_sbrr_dirReg ; -- Begin function fft_rtc_fwd_len1156_factors_17_2_17_2_wgs_204_tpt_68_halfLds_dp_ip_CI_unitstride_sbrr_dirReg
	.globl	fft_rtc_fwd_len1156_factors_17_2_17_2_wgs_204_tpt_68_halfLds_dp_ip_CI_unitstride_sbrr_dirReg
	.p2align	8
	.type	fft_rtc_fwd_len1156_factors_17_2_17_2_wgs_204_tpt_68_halfLds_dp_ip_CI_unitstride_sbrr_dirReg,@function
fft_rtc_fwd_len1156_factors_17_2_17_2_wgs_204_tpt_68_halfLds_dp_ip_CI_unitstride_sbrr_dirReg: ; @fft_rtc_fwd_len1156_factors_17_2_17_2_wgs_204_tpt_68_halfLds_dp_ip_CI_unitstride_sbrr_dirReg
; %bb.0:
	s_load_dwordx2 s[8:9], s[0:1], 0x50
	s_load_dwordx4 s[4:7], s[0:1], 0x0
	s_load_dwordx2 s[10:11], s[0:1], 0x18
	v_mul_u32_u24_e32 v1, 0x3c4, v0
	v_lshrrev_b32_e32 v2, 16, v1
	v_mad_u64_u32 v[68:69], s[2:3], s2, 3, v[2:3]
	v_mov_b32_e32 v4, 0
	v_mov_b32_e32 v69, v4
	s_waitcnt lgkmcnt(0)
	v_cmp_lt_u64_e64 s[2:3], s[6:7], 2
	s_and_b64 vcc, exec, s[2:3]
	v_mov_b64_e32 v[2:3], 0
	v_mov_b64_e32 v[8:9], v[68:69]
	s_cbranch_vccnz .LBB0_8
; %bb.1:
	s_load_dwordx2 s[2:3], s[0:1], 0x10
	s_add_u32 s12, s10, 8
	s_addc_u32 s13, s11, 0
	s_mov_b64 s[14:15], 1
	v_mov_b64_e32 v[2:3], 0
	s_waitcnt lgkmcnt(0)
	s_add_u32 s16, s2, 8
	s_addc_u32 s17, s3, 0
	v_mov_b64_e32 v[6:7], v[68:69]
.LBB0_2:                                ; =>This Inner Loop Header: Depth=1
	s_load_dwordx2 s[18:19], s[16:17], 0x0
                                        ; implicit-def: $vgpr8_vgpr9
	s_waitcnt lgkmcnt(0)
	v_or_b32_e32 v5, s19, v7
	v_cmp_ne_u64_e32 vcc, 0, v[4:5]
	s_and_saveexec_b64 s[2:3], vcc
	s_xor_b64 s[20:21], exec, s[2:3]
	s_cbranch_execz .LBB0_4
; %bb.3:                                ;   in Loop: Header=BB0_2 Depth=1
	v_cvt_f32_u32_e32 v1, s18
	v_cvt_f32_u32_e32 v5, s19
	s_sub_u32 s2, 0, s18
	s_subb_u32 s3, 0, s19
	v_fmac_f32_e32 v1, 0x4f800000, v5
	v_rcp_f32_e32 v1, v1
	s_nop 0
	v_mul_f32_e32 v1, 0x5f7ffffc, v1
	v_mul_f32_e32 v5, 0x2f800000, v1
	v_trunc_f32_e32 v5, v5
	v_fmac_f32_e32 v1, 0xcf800000, v5
	v_cvt_u32_f32_e32 v5, v5
	v_cvt_u32_f32_e32 v1, v1
	v_mul_lo_u32 v8, s2, v5
	v_mul_hi_u32 v10, s2, v1
	v_mul_lo_u32 v9, s3, v1
	v_add_u32_e32 v10, v10, v8
	v_mul_lo_u32 v12, s2, v1
	v_add_u32_e32 v13, v10, v9
	v_mul_hi_u32 v8, v1, v12
	v_mul_hi_u32 v11, v1, v13
	v_mul_lo_u32 v10, v1, v13
	v_mov_b32_e32 v9, v4
	v_lshl_add_u64 v[8:9], v[8:9], 0, v[10:11]
	v_mul_hi_u32 v11, v5, v12
	v_mul_lo_u32 v12, v5, v12
	v_add_co_u32_e32 v8, vcc, v8, v12
	v_mul_hi_u32 v10, v5, v13
	s_nop 0
	v_addc_co_u32_e32 v8, vcc, v9, v11, vcc
	v_mov_b32_e32 v9, v4
	s_nop 0
	v_addc_co_u32_e32 v11, vcc, 0, v10, vcc
	v_mul_lo_u32 v10, v5, v13
	v_lshl_add_u64 v[8:9], v[8:9], 0, v[10:11]
	v_add_co_u32_e32 v1, vcc, v1, v8
	v_mul_lo_u32 v10, s2, v1
	s_nop 0
	v_addc_co_u32_e32 v5, vcc, v5, v9, vcc
	v_mul_lo_u32 v8, s2, v5
	v_mul_hi_u32 v9, s2, v1
	v_add_u32_e32 v8, v9, v8
	v_mul_lo_u32 v9, s3, v1
	v_add_u32_e32 v12, v8, v9
	v_mul_hi_u32 v14, v5, v10
	v_mul_lo_u32 v15, v5, v10
	v_mul_hi_u32 v9, v1, v12
	v_mul_lo_u32 v8, v1, v12
	v_mul_hi_u32 v10, v1, v10
	v_mov_b32_e32 v11, v4
	v_lshl_add_u64 v[8:9], v[10:11], 0, v[8:9]
	v_add_co_u32_e32 v8, vcc, v8, v15
	v_mul_hi_u32 v13, v5, v12
	s_nop 0
	v_addc_co_u32_e32 v8, vcc, v9, v14, vcc
	v_mul_lo_u32 v10, v5, v12
	s_nop 0
	v_addc_co_u32_e32 v11, vcc, 0, v13, vcc
	v_mov_b32_e32 v9, v4
	v_lshl_add_u64 v[8:9], v[8:9], 0, v[10:11]
	v_add_co_u32_e32 v1, vcc, v1, v8
	v_mul_hi_u32 v10, v6, v1
	s_nop 0
	v_addc_co_u32_e32 v5, vcc, v5, v9, vcc
	v_mad_u64_u32 v[8:9], s[2:3], v6, v5, 0
	v_mov_b32_e32 v11, v4
	v_lshl_add_u64 v[8:9], v[10:11], 0, v[8:9]
	v_mad_u64_u32 v[12:13], s[2:3], v7, v1, 0
	v_add_co_u32_e32 v1, vcc, v8, v12
	v_mad_u64_u32 v[10:11], s[2:3], v7, v5, 0
	s_nop 0
	v_addc_co_u32_e32 v8, vcc, v9, v13, vcc
	v_mov_b32_e32 v9, v4
	s_nop 0
	v_addc_co_u32_e32 v11, vcc, 0, v11, vcc
	v_lshl_add_u64 v[8:9], v[8:9], 0, v[10:11]
	v_mul_lo_u32 v1, s19, v8
	v_mul_lo_u32 v5, s18, v9
	v_mad_u64_u32 v[10:11], s[2:3], s18, v8, 0
	v_add3_u32 v1, v11, v5, v1
	v_sub_u32_e32 v5, v7, v1
	v_mov_b32_e32 v11, s19
	v_sub_co_u32_e32 v14, vcc, v6, v10
	v_lshl_add_u64 v[12:13], v[8:9], 0, 1
	s_nop 0
	v_subb_co_u32_e64 v5, s[2:3], v5, v11, vcc
	v_subrev_co_u32_e64 v10, s[2:3], s18, v14
	v_subb_co_u32_e32 v1, vcc, v7, v1, vcc
	s_nop 0
	v_subbrev_co_u32_e64 v5, s[2:3], 0, v5, s[2:3]
	v_cmp_le_u32_e64 s[2:3], s19, v5
	v_cmp_le_u32_e32 vcc, s19, v1
	s_nop 0
	v_cndmask_b32_e64 v11, 0, -1, s[2:3]
	v_cmp_le_u32_e64 s[2:3], s18, v10
	s_nop 1
	v_cndmask_b32_e64 v10, 0, -1, s[2:3]
	v_cmp_eq_u32_e64 s[2:3], s19, v5
	s_nop 1
	v_cndmask_b32_e64 v5, v11, v10, s[2:3]
	v_lshl_add_u64 v[10:11], v[8:9], 0, 2
	v_cmp_ne_u32_e64 s[2:3], 0, v5
	s_nop 1
	v_cndmask_b32_e64 v5, v13, v11, s[2:3]
	v_cndmask_b32_e64 v11, 0, -1, vcc
	v_cmp_le_u32_e32 vcc, s18, v14
	s_nop 1
	v_cndmask_b32_e64 v13, 0, -1, vcc
	v_cmp_eq_u32_e32 vcc, s19, v1
	s_nop 1
	v_cndmask_b32_e32 v1, v11, v13, vcc
	v_cmp_ne_u32_e32 vcc, 0, v1
	v_cndmask_b32_e64 v1, v12, v10, s[2:3]
	s_nop 0
	v_cndmask_b32_e32 v9, v9, v5, vcc
	v_cndmask_b32_e32 v8, v8, v1, vcc
.LBB0_4:                                ;   in Loop: Header=BB0_2 Depth=1
	s_andn2_saveexec_b64 s[2:3], s[20:21]
	s_cbranch_execz .LBB0_6
; %bb.5:                                ;   in Loop: Header=BB0_2 Depth=1
	v_cvt_f32_u32_e32 v1, s18
	s_sub_i32 s20, 0, s18
	v_rcp_iflag_f32_e32 v1, v1
	s_nop 0
	v_mul_f32_e32 v1, 0x4f7ffffe, v1
	v_cvt_u32_f32_e32 v1, v1
	v_mul_lo_u32 v5, s20, v1
	v_mul_hi_u32 v5, v1, v5
	v_add_u32_e32 v1, v1, v5
	v_mul_hi_u32 v1, v6, v1
	v_mul_lo_u32 v5, v1, s18
	v_sub_u32_e32 v5, v6, v5
	v_add_u32_e32 v8, 1, v1
	v_subrev_u32_e32 v9, s18, v5
	v_cmp_le_u32_e32 vcc, s18, v5
	s_nop 1
	v_cndmask_b32_e32 v5, v5, v9, vcc
	v_cndmask_b32_e32 v1, v1, v8, vcc
	v_add_u32_e32 v8, 1, v1
	v_cmp_le_u32_e32 vcc, s18, v5
	v_mov_b32_e32 v9, v4
	s_nop 0
	v_cndmask_b32_e32 v8, v1, v8, vcc
.LBB0_6:                                ;   in Loop: Header=BB0_2 Depth=1
	s_or_b64 exec, exec, s[2:3]
	v_mad_u64_u32 v[10:11], s[2:3], v8, s18, 0
	s_load_dwordx2 s[2:3], s[12:13], 0x0
	v_mul_lo_u32 v1, v9, s18
	v_mul_lo_u32 v5, v8, s19
	v_add3_u32 v1, v11, v5, v1
	v_sub_co_u32_e32 v5, vcc, v6, v10
	s_add_u32 s14, s14, 1
	s_nop 0
	v_subb_co_u32_e32 v1, vcc, v7, v1, vcc
	s_addc_u32 s15, s15, 0
	s_waitcnt lgkmcnt(0)
	v_mul_lo_u32 v1, s2, v1
	v_mul_lo_u32 v6, s3, v5
	v_mad_u64_u32 v[2:3], s[2:3], s2, v5, v[2:3]
	s_add_u32 s12, s12, 8
	v_add3_u32 v3, v6, v3, v1
	s_addc_u32 s13, s13, 0
	v_mov_b64_e32 v[6:7], s[6:7]
	s_add_u32 s16, s16, 8
	v_cmp_ge_u64_e32 vcc, s[14:15], v[6:7]
	s_addc_u32 s17, s17, 0
	s_cbranch_vccnz .LBB0_8
; %bb.7:                                ;   in Loop: Header=BB0_2 Depth=1
	v_mov_b64_e32 v[6:7], v[8:9]
	s_branch .LBB0_2
.LBB0_8:
	s_lshl_b64 s[2:3], s[6:7], 3
	s_add_u32 s2, s10, s2
	s_addc_u32 s3, s11, s3
	s_load_dwordx2 s[6:7], s[2:3], 0x0
	s_load_dwordx2 s[10:11], s[0:1], 0x20
	s_mov_b32 s2, 0x3c3c3c4
                                        ; implicit-def: $vgpr66_vgpr67
                                        ; implicit-def: $vgpr62_vgpr63
                                        ; implicit-def: $vgpr58_vgpr59
                                        ; implicit-def: $vgpr54_vgpr55
                                        ; implicit-def: $vgpr46_vgpr47
                                        ; implicit-def: $vgpr26_vgpr27
                                        ; implicit-def: $vgpr18_vgpr19
                                        ; implicit-def: $vgpr6_vgpr7
                                        ; implicit-def: $vgpr10_vgpr11
                                        ; implicit-def: $vgpr14_vgpr15
                                        ; implicit-def: $vgpr22_vgpr23
                                        ; implicit-def: $vgpr30_vgpr31
                                        ; implicit-def: $vgpr34_vgpr35
                                        ; implicit-def: $vgpr42_vgpr43
                                        ; implicit-def: $vgpr50_vgpr51
                                        ; implicit-def: $vgpr38_vgpr39
	s_waitcnt lgkmcnt(0)
	v_mul_lo_u32 v1, s6, v9
	v_mul_lo_u32 v4, s7, v8
	v_mad_u64_u32 v[2:3], s[0:1], s6, v8, v[2:3]
	v_add3_u32 v3, v4, v3, v1
	v_mul_hi_u32 v1, v0, s2
	v_mul_u32_u24_e32 v1, 0x44, v1
	v_cmp_gt_u64_e64 s[0:1], s[10:11], v[8:9]
	v_sub_u32_e32 v90, v0, v1
	v_lshl_add_u64 v[88:89], v[2:3], 4, s[8:9]
                                        ; implicit-def: $vgpr2_vgpr3
	s_and_saveexec_b64 s[2:3], s[0:1]
	s_cbranch_execz .LBB0_10
; %bb.9:
	v_mov_b32_e32 v91, 0
	v_lshl_add_u64 v[44:45], v[90:91], 4, v[88:89]
	s_movk_i32 s6, 0x1000
	v_add_co_u32_e32 v0, vcc, s6, v44
	s_movk_i32 s6, 0x2000
	s_nop 0
	v_addc_co_u32_e32 v1, vcc, 0, v45, vcc
	v_add_co_u32_e32 v46, vcc, s6, v44
	s_movk_i32 s6, 0x3000
	s_nop 0
	v_addc_co_u32_e32 v47, vcc, 0, v45, vcc
	v_add_co_u32_e32 v70, vcc, s6, v44
	global_load_dwordx4 v[36:39], v[44:45], off
	global_load_dwordx4 v[48:51], v[44:45], off offset:1088
	global_load_dwordx4 v[40:43], v[44:45], off offset:2176
	;; [unrolled: 1-line block ×3, first 2 shown]
	v_addc_co_u32_e32 v71, vcc, 0, v45, vcc
	v_add_co_u32_e32 v72, vcc, 0x4000, v44
	global_load_dwordx4 v[28:31], v[0:1], off offset:256
	global_load_dwordx4 v[20:23], v[0:1], off offset:1344
	;; [unrolled: 1-line block ×4, first 2 shown]
	s_nop 0
	global_load_dwordx4 v[0:3], v[46:47], off offset:512
	global_load_dwordx4 v[4:7], v[46:47], off offset:1600
	;; [unrolled: 1-line block ×4, first 2 shown]
	v_addc_co_u32_e32 v73, vcc, 0, v45, vcc
	global_load_dwordx4 v[44:47], v[70:71], off offset:768
	global_load_dwordx4 v[52:55], v[70:71], off offset:1856
	global_load_dwordx4 v[56:59], v[70:71], off offset:2944
	global_load_dwordx4 v[60:63], v[70:71], off offset:4032
	global_load_dwordx4 v[64:67], v[72:73], off offset:1024
.LBB0_10:
	s_or_b64 exec, exec, s[2:3]
	s_mov_b32 s2, 0xaaaaaaab
	v_mul_hi_u32 v69, v68, s2
	s_mov_b32 s8, 0x370991
	s_mov_b32 s14, 0x75d4884
	;; [unrolled: 1-line block ×8, first 2 shown]
	v_lshrrev_b32_e32 v69, 1, v69
	s_waitcnt vmcnt(0)
	v_add_f64 v[70:71], v[64:65], v[48:49]
	s_mov_b32 s9, 0x3fedd6d0
	s_mov_b32 s18, 0x5d8e7cdc
	;; [unrolled: 1-line block ×16, first 2 shown]
	v_lshl_add_u32 v69, v69, 1, v69
	v_add_f64 v[72:73], v[50:51], -v[66:67]
	v_mul_f64 v[74:75], v[70:71], s[8:9]
	s_mov_b32 s19, 0x3fd71e95
	s_mov_b32 s29, 0xbfd71e95
	s_mov_b32 s28, s18
	v_mul_f64 v[78:79], v[70:71], s[14:15]
	s_mov_b32 s23, 0x3fe58eea
	s_mov_b32 s45, 0xbfe58eea
	s_mov_b32 s44, s22
	;; [unrolled: 4-line block ×8, first 2 shown]
	v_sub_u32_e32 v68, v68, v69
	v_fma_f64 v[76:77], s[18:19], v[72:73], v[74:75]
	v_fmac_f64_e32 v[74:75], s[28:29], v[72:73]
	v_fma_f64 v[80:81], s[22:23], v[72:73], v[78:79]
	v_fmac_f64_e32 v[78:79], s[44:45], v[72:73]
	;; [unrolled: 2-line block ×8, first 2 shown]
	v_mul_u32_u24_e32 v91, 0x484, v68
	v_add_f64 v[68:69], v[48:49], v[36:37]
	v_add_f64 v[76:77], v[36:37], v[76:77]
	v_add_f64 v[74:75], v[36:37], v[74:75]
	v_add_f64 v[80:81], v[36:37], v[80:81]
	v_add_f64 v[78:79], v[36:37], v[78:79]
	v_add_f64 v[84:85], v[36:37], v[84:85]
	v_add_f64 v[82:83], v[36:37], v[82:83]
	v_add_f64 v[92:93], v[36:37], v[92:93]
	v_add_f64 v[86:87], v[36:37], v[86:87]
	v_add_f64 v[96:97], v[36:37], v[96:97]
	v_add_f64 v[94:95], v[36:37], v[94:95]
	v_add_f64 v[100:101], v[36:37], v[100:101]
	v_add_f64 v[98:99], v[36:37], v[98:99]
	v_add_f64 v[104:105], v[36:37], v[104:105]
	v_add_f64 v[102:103], v[36:37], v[102:103]
	v_add_f64 v[106:107], v[36:37], v[106:107]
	v_add_f64 v[36:37], v[36:37], v[70:71]
	v_add_f64 v[70:71], v[60:61], v[40:41]
	v_add_f64 v[72:73], v[42:43], -v[62:63]
	v_mul_f64 v[108:109], v[70:71], s[14:15]
	v_fma_f64 v[110:111], s[22:23], v[72:73], v[108:109]
	v_fmac_f64_e32 v[108:109], s[44:45], v[72:73]
	v_add_f64 v[74:75], v[108:109], v[74:75]
	v_mul_f64 v[108:109], v[70:71], s[6:7]
	v_add_f64 v[76:77], v[110:111], v[76:77]
	v_fma_f64 v[110:111], s[10:11], v[72:73], v[108:109]
	v_fmac_f64_e32 v[108:109], s[40:41], v[72:73]
	v_add_f64 v[78:79], v[108:109], v[78:79]
	v_mul_f64 v[108:109], v[70:71], s[26:27]
	v_add_f64 v[80:81], v[110:111], v[80:81]
	v_fma_f64 v[110:111], s[46:47], v[72:73], v[108:109]
	v_fmac_f64_e32 v[108:109], s[30:31], v[72:73]
	v_add_f64 v[82:83], v[108:109], v[82:83]
	v_mul_f64 v[108:109], v[70:71], s[38:39]
	v_add_f64 v[84:85], v[110:111], v[84:85]
	v_fma_f64 v[110:111], s[54:55], v[72:73], v[108:109]
	v_fmac_f64_e32 v[108:109], s[42:43], v[72:73]
	v_add_f64 v[86:87], v[108:109], v[86:87]
	v_mul_f64 v[108:109], v[70:71], s[34:35]
	v_add_f64 v[92:93], v[110:111], v[92:93]
	v_fma_f64 v[110:111], s[36:37], v[72:73], v[108:109]
	v_fmac_f64_e32 v[108:109], s[52:53], v[72:73]
	v_add_f64 v[94:95], v[108:109], v[94:95]
	v_mul_f64 v[108:109], v[70:71], s[20:21]
	v_add_f64 v[96:97], v[110:111], v[96:97]
	v_fma_f64 v[110:111], s[24:25], v[72:73], v[108:109]
	v_fmac_f64_e32 v[108:109], s[48:49], v[72:73]
	v_add_f64 v[98:99], v[108:109], v[98:99]
	v_mul_f64 v[108:109], v[70:71], s[12:13]
	v_add_f64 v[100:101], v[110:111], v[100:101]
	v_fma_f64 v[110:111], s[50:51], v[72:73], v[108:109]
	v_fmac_f64_e32 v[108:109], s[16:17], v[72:73]
	v_mul_f64 v[70:71], v[70:71], s[8:9]
	v_add_f64 v[102:103], v[108:109], v[102:103]
	v_fma_f64 v[108:109], s[28:29], v[72:73], v[70:71]
	v_fmac_f64_e32 v[70:71], s[18:19], v[72:73]
	v_add_f64 v[36:37], v[70:71], v[36:37]
	v_add_f64 v[70:71], v[56:57], v[32:33]
	v_add_f64 v[106:107], v[108:109], v[106:107]
	v_add_f64 v[72:73], v[34:35], -v[58:59]
	v_mul_f64 v[108:109], v[70:71], s[12:13]
	v_add_f64 v[104:105], v[110:111], v[104:105]
	v_fma_f64 v[110:111], s[16:17], v[72:73], v[108:109]
	v_fmac_f64_e32 v[108:109], s[50:51], v[72:73]
	v_add_f64 v[74:75], v[108:109], v[74:75]
	v_mul_f64 v[108:109], v[70:71], s[26:27]
	v_add_f64 v[76:77], v[110:111], v[76:77]
	v_fma_f64 v[110:111], s[46:47], v[72:73], v[108:109]
	v_fmac_f64_e32 v[108:109], s[30:31], v[72:73]
	v_add_f64 v[78:79], v[108:109], v[78:79]
	v_mul_f64 v[108:109], v[70:71], s[38:39]
	v_add_f64 v[80:81], v[110:111], v[80:81]
	v_fma_f64 v[110:111], s[42:43], v[72:73], v[108:109]
	v_fmac_f64_e32 v[108:109], s[54:55], v[72:73]
	v_add_f64 v[82:83], v[108:109], v[82:83]
	v_mul_f64 v[108:109], v[70:71], s[20:21]
	v_add_f64 v[84:85], v[110:111], v[84:85]
	v_fma_f64 v[110:111], s[24:25], v[72:73], v[108:109]
	v_fmac_f64_e32 v[108:109], s[48:49], v[72:73]
	v_add_f64 v[86:87], v[108:109], v[86:87]
	v_mul_f64 v[108:109], v[70:71], s[14:15]
	v_add_f64 v[92:93], v[110:111], v[92:93]
	v_fma_f64 v[110:111], s[44:45], v[72:73], v[108:109]
	v_fmac_f64_e32 v[108:109], s[22:23], v[72:73]
	v_add_f64 v[94:95], v[108:109], v[94:95]
	v_mul_f64 v[108:109], v[70:71], s[8:9]
	v_add_f64 v[96:97], v[110:111], v[96:97]
	v_fma_f64 v[110:111], s[18:19], v[72:73], v[108:109]
	v_fmac_f64_e32 v[108:109], s[28:29], v[72:73]
	v_add_f64 v[98:99], v[108:109], v[98:99]
	v_mul_f64 v[108:109], v[70:71], s[6:7]
	v_add_f64 v[100:101], v[110:111], v[100:101]
	v_fma_f64 v[110:111], s[10:11], v[72:73], v[108:109]
	v_fmac_f64_e32 v[108:109], s[40:41], v[72:73]
	v_mul_f64 v[70:71], v[70:71], s[34:35]
	v_add_f64 v[102:103], v[108:109], v[102:103]
	v_fma_f64 v[108:109], s[52:53], v[72:73], v[70:71]
	v_fmac_f64_e32 v[70:71], s[36:37], v[72:73]
	v_add_f64 v[36:37], v[70:71], v[36:37]
	v_add_f64 v[70:71], v[52:53], v[28:29]
	v_add_f64 v[106:107], v[108:109], v[106:107]
	v_add_f64 v[72:73], v[30:31], -v[54:55]
	v_mul_f64 v[108:109], v[70:71], s[6:7]
	v_add_f64 v[104:105], v[110:111], v[104:105]
	;; [unrolled: 42-line block ×5, first 2 shown]
	v_fma_f64 v[110:111], s[52:53], v[72:73], v[108:109]
	v_fmac_f64_e32 v[108:109], s[36:37], v[72:73]
	v_add_f64 v[74:75], v[108:109], v[74:75]
	v_mul_f64 v[108:109], v[70:71], s[12:13]
	v_add_f64 v[76:77], v[110:111], v[76:77]
	v_fma_f64 v[110:111], s[50:51], v[72:73], v[108:109]
	v_fmac_f64_e32 v[108:109], s[16:17], v[72:73]
	v_add_f64 v[78:79], v[108:109], v[78:79]
	v_mul_f64 v[108:109], v[70:71], s[6:7]
	v_add_f64 v[80:81], v[110:111], v[80:81]
	;; [unrolled: 5-line block ×5, first 2 shown]
	v_fma_f64 v[110:111], s[54:55], v[72:73], v[108:109]
	v_add_f64 v[110:111], v[110:111], v[100:101]
	v_fmac_f64_e32 v[108:109], s[42:43], v[72:73]
	v_mul_f64 v[100:101], v[70:71], s[14:15]
	v_add_f64 v[98:99], v[108:109], v[98:99]
	v_fma_f64 v[108:109], s[44:45], v[72:73], v[100:101]
	v_fmac_f64_e32 v[100:101], s[22:23], v[72:73]
	v_mul_f64 v[70:71], v[70:71], s[20:21]
	v_add_f64 v[102:103], v[100:101], v[102:103]
	v_fma_f64 v[100:101], s[48:49], v[72:73], v[70:71]
	v_fmac_f64_e32 v[70:71], s[24:25], v[72:73]
	v_add_f64 v[112:113], v[4:5], v[0:1]
	v_add_f64 v[104:105], v[108:109], v[104:105]
	;; [unrolled: 1-line block ×3, first 2 shown]
	v_add_f64 v[114:115], v[2:3], -v[6:7]
	v_mul_f64 v[36:37], v[112:113], s[38:39]
	v_add_f64 v[68:69], v[40:41], v[68:69]
	v_fma_f64 v[70:71], s[54:55], v[114:115], v[36:37]
	v_fmac_f64_e32 v[36:37], s[42:43], v[114:115]
	v_add_f64 v[68:69], v[32:33], v[68:69]
	v_add_f64 v[106:107], v[100:101], v[106:107]
	;; [unrolled: 1-line block ×3, first 2 shown]
	v_mul_f64 v[36:37], v[112:113], s[8:9]
	v_add_f64 v[68:69], v[28:29], v[68:69]
	v_add_f64 v[118:119], v[70:71], v[76:77]
	v_fma_f64 v[70:71], s[28:29], v[114:115], v[36:37]
	v_add_f64 v[68:69], v[20:21], v[68:69]
	v_add_f64 v[120:121], v[70:71], v[80:81]
	v_mul_f64 v[70:71], v[112:113], s[34:35]
	v_add_f64 v[68:69], v[12:13], v[68:69]
	v_fma_f64 v[72:73], s[52:53], v[114:115], v[70:71]
	v_add_f64 v[68:69], v[8:9], v[68:69]
	v_add_f64 v[124:125], v[72:73], v[84:85]
	v_mul_f64 v[72:73], v[112:113], s[14:15]
	;; [unrolled: 5-line block ×3, first 2 shown]
	v_add_f64 v[68:69], v[16:17], v[68:69]
	v_fma_f64 v[76:77], s[46:47], v[114:115], v[74:75]
	v_add_f64 v[68:69], v[24:25], v[68:69]
	v_fmac_f64_e32 v[36:37], s[18:19], v[114:115]
	v_add_f64 v[96:97], v[76:77], v[96:97]
	v_mul_f64 v[76:77], v[112:113], s[12:13]
	v_add_f64 v[68:69], v[44:45], v[68:69]
	v_add_f64 v[36:37], v[36:37], v[78:79]
	v_fma_f64 v[78:79], s[50:51], v[114:115], v[76:77]
	v_add_f64 v[68:69], v[52:53], v[68:69]
	v_add_f64 v[84:85], v[78:79], v[110:111]
	v_mul_f64 v[78:79], v[112:113], s[20:21]
	v_add_f64 v[68:69], v[56:57], v[68:69]
	v_fmac_f64_e32 v[70:71], s[36:37], v[114:115]
	v_fma_f64 v[80:81], s[48:49], v[114:115], v[78:79]
	v_fmac_f64_e32 v[78:79], s[24:25], v[114:115]
	v_lshlrev_b32_e32 v123, 3, v91
	v_add_f64 v[68:69], v[60:61], v[68:69]
	v_add_f64 v[70:71], v[70:71], v[82:83]
	v_fmac_f64_e32 v[72:73], s[22:23], v[114:115]
	v_add_f64 v[78:79], v[78:79], v[102:103]
	v_mul_f64 v[82:83], v[112:113], s[6:7]
	v_add_u32_e32 v102, 0, v123
	s_movk_i32 s2, 0x88
	v_add_f64 v[68:69], v[64:65], v[68:69]
	v_add_f64 v[72:73], v[72:73], v[86:87]
	v_fmac_f64_e32 v[74:75], s[30:31], v[114:115]
	v_fmac_f64_e32 v[76:77], s[16:17], v[114:115]
	v_add_f64 v[86:87], v[80:81], v[104:105]
	v_fma_f64 v[80:81], s[40:41], v[114:115], v[82:83]
	v_fmac_f64_e32 v[82:83], s[10:11], v[114:115]
	v_mad_u32_u24 v116, v90, s2, v102
	v_add_f64 v[74:75], v[74:75], v[94:95]
	v_add_f64 v[76:77], v[76:77], v[98:99]
	;; [unrolled: 1-line block ×4, first 2 shown]
	ds_write2_b64 v116, v[68:69], v[118:119] offset1:1
	ds_write2_b64 v116, v[120:121], v[124:125] offset0:2 offset1:3
	ds_write2_b64 v116, v[92:93], v[96:97] offset0:4 offset1:5
	;; [unrolled: 1-line block ×7, first 2 shown]
	ds_write_b64 v116, v[100:101] offset:128
	v_lshlrev_b32_e32 v36, 3, v90
	v_add3_u32 v91, 0, v36, v123
	v_add_u32_e32 v93, v102, v36
	v_add_u32_e32 v117, 0x1000, v91
	;; [unrolled: 1-line block ×6, first 2 shown]
	s_waitcnt lgkmcnt(0)
	s_barrier
	ds_read2_b64 v[72:75], v117 offset0:66 offset1:134
	ds_read2_b64 v[84:87], v91 offset0:68 offset1:136
	;; [unrolled: 1-line block ×3, first 2 shown]
	v_lshl_add_u32 v95, v94, 3, v102
	ds_read2_b64 v[76:79], v119 offset0:82 offset1:150
	v_lshl_add_u32 v97, v96, 3, v102
	ds_read_b64 v[110:111], v93
	ds_read_b64 v[104:105], v91 offset:1632
	ds_read_b64 v[106:107], v95
	ds_read_b64 v[108:109], v97
	v_add_u32_e32 v98, 0x198, v90
	v_add_u32_e32 v92, 0x1dc, v90
	v_lshl_add_u32 v99, v98, 3, v102
	v_add_u32_e32 v120, 0x1c00, v91
	ds_read2_b64 v[80:83], v120 offset0:90 offset1:158
	v_lshl_add_u32 v122, v92, 3, v102
	ds_read_b64 v[114:115], v99
	ds_read_b64 v[112:113], v122
	v_cmp_gt_u32_e64 s[2:3], 34, v90
                                        ; implicit-def: $vgpr102_vgpr103
	s_and_saveexec_b64 s[56:57], s[2:3]
	s_cbranch_execz .LBB0_12
; %bb.11:
	ds_read_b64 v[100:101], v91 offset:4352
	ds_read_b64 v[102:103], v91 offset:8976
.LBB0_12:
	s_or_b64 exec, exec, s[56:57]
	v_add_f64 v[36:37], v[50:51], v[38:39]
	v_add_f64 v[36:37], v[42:43], v[36:37]
	;; [unrolled: 1-line block ×14, first 2 shown]
	v_add_f64 v[48:49], v[48:49], -v[64:65]
	v_add_f64 v[36:37], v[62:63], v[36:37]
	v_add_f64 v[50:51], v[66:67], v[50:51]
	v_mul_f64 v[64:65], v[48:49], s[28:29]
	v_mul_f64 v[124:125], v[48:49], s[44:45]
	;; [unrolled: 1-line block ×8, first 2 shown]
	v_add_f64 v[36:37], v[66:67], v[36:37]
	v_fma_f64 v[66:67], s[8:9], v[50:51], v[64:65]
	v_fma_f64 v[64:65], v[50:51], s[8:9], -v[64:65]
	v_fma_f64 v[126:127], s[14:15], v[50:51], v[124:125]
	v_fma_f64 v[124:125], v[50:51], s[14:15], -v[124:125]
	;; [unrolled: 2-line block ×8, first 2 shown]
	v_add_f64 v[40:41], v[40:41], -v[60:61]
	v_add_f64 v[66:67], v[38:39], v[66:67]
	v_add_f64 v[64:65], v[38:39], v[64:65]
	;; [unrolled: 1-line block ×17, first 2 shown]
	v_mul_f64 v[48:49], v[40:41], s[44:45]
	v_fma_f64 v[50:51], s[14:15], v[42:43], v[48:49]
	v_fma_f64 v[48:49], v[42:43], s[14:15], -v[48:49]
	v_mul_f64 v[60:61], v[40:41], s[40:41]
	v_add_f64 v[48:49], v[48:49], v[64:65]
	v_fma_f64 v[62:63], s[6:7], v[42:43], v[60:61]
	v_fma_f64 v[60:61], v[42:43], s[6:7], -v[60:61]
	v_mul_f64 v[64:65], v[40:41], s[30:31]
	v_add_f64 v[50:51], v[50:51], v[66:67]
	v_add_f64 v[60:61], v[60:61], v[124:125]
	v_fma_f64 v[66:67], s[26:27], v[42:43], v[64:65]
	v_fma_f64 v[64:65], v[42:43], s[26:27], -v[64:65]
	v_mul_f64 v[124:125], v[40:41], s[42:43]
	v_add_f64 v[62:63], v[62:63], v[126:127]
	;; [unrolled: 5-line block ×4, first 2 shown]
	v_add_f64 v[128:129], v[128:129], v[136:137]
	v_fma_f64 v[134:135], s[20:21], v[42:43], v[132:133]
	v_fma_f64 v[132:133], v[42:43], s[20:21], -v[132:133]
	v_mul_f64 v[136:137], v[40:41], s[16:17]
	v_mul_f64 v[40:41], v[40:41], s[18:19]
	v_add_f64 v[132:133], v[132:133], v[140:141]
	v_fma_f64 v[140:141], s[8:9], v[42:43], v[40:41]
	v_fma_f64 v[40:41], v[42:43], s[8:9], -v[40:41]
	v_add_f64 v[32:33], v[32:33], -v[56:57]
	v_add_f64 v[38:39], v[40:41], v[38:39]
	v_add_f64 v[34:35], v[58:59], v[34:35]
	v_mul_f64 v[40:41], v[32:33], s[50:51]
	v_add_f64 v[130:131], v[130:131], v[138:139]
	v_fma_f64 v[138:139], s[12:13], v[42:43], v[136:137]
	v_fma_f64 v[136:137], v[42:43], s[12:13], -v[136:137]
	v_fma_f64 v[42:43], s[12:13], v[34:35], v[40:41]
	v_fma_f64 v[40:41], v[34:35], s[12:13], -v[40:41]
	v_add_f64 v[40:41], v[40:41], v[48:49]
	v_mul_f64 v[48:49], v[32:33], s[30:31]
	v_add_f64 v[42:43], v[42:43], v[50:51]
	v_fma_f64 v[50:51], s[26:27], v[34:35], v[48:49]
	v_fma_f64 v[48:49], v[34:35], s[26:27], -v[48:49]
	v_mul_f64 v[56:57], v[32:33], s[54:55]
	v_add_f64 v[48:49], v[48:49], v[60:61]
	v_fma_f64 v[58:59], s[38:39], v[34:35], v[56:57]
	v_fma_f64 v[56:57], v[34:35], s[38:39], -v[56:57]
	v_mul_f64 v[60:61], v[32:33], s[48:49]
	v_add_f64 v[50:51], v[50:51], v[62:63]
	v_add_f64 v[56:57], v[56:57], v[64:65]
	v_fma_f64 v[62:63], s[20:21], v[34:35], v[60:61]
	v_fma_f64 v[60:61], v[34:35], s[20:21], -v[60:61]
	v_mul_f64 v[64:65], v[32:33], s[22:23]
	v_add_f64 v[58:59], v[58:59], v[66:67]
	v_add_f64 v[60:61], v[60:61], v[124:125]
	v_fma_f64 v[66:67], s[14:15], v[34:35], v[64:65]
	v_fma_f64 v[64:65], v[34:35], s[14:15], -v[64:65]
	v_mul_f64 v[124:125], v[32:33], s[28:29]
	v_add_f64 v[62:63], v[62:63], v[126:127]
	v_add_f64 v[64:65], v[64:65], v[128:129]
	v_fma_f64 v[126:127], s[8:9], v[34:35], v[124:125]
	v_fma_f64 v[124:125], v[34:35], s[8:9], -v[124:125]
	v_mul_f64 v[128:129], v[32:33], s[40:41]
	v_mul_f64 v[32:33], v[32:33], s[36:37]
	v_add_f64 v[28:29], v[28:29], -v[52:53]
	v_add_f64 v[66:67], v[66:67], v[130:131]
	v_add_f64 v[124:125], v[124:125], v[132:133]
	v_fma_f64 v[130:131], s[6:7], v[34:35], v[128:129]
	v_fma_f64 v[128:129], v[34:35], s[6:7], -v[128:129]
	v_fma_f64 v[132:133], s[34:35], v[34:35], v[32:33]
	v_fma_f64 v[32:33], v[34:35], s[34:35], -v[32:33]
	v_add_f64 v[30:31], v[54:55], v[30:31]
	v_mul_f64 v[34:35], v[28:29], s[40:41]
	v_add_f64 v[32:33], v[32:33], v[38:39]
	v_fma_f64 v[38:39], s[6:7], v[30:31], v[34:35]
	v_fma_f64 v[34:35], v[30:31], s[6:7], -v[34:35]
	v_add_f64 v[34:35], v[34:35], v[40:41]
	v_mul_f64 v[40:41], v[28:29], s[42:43]
	v_add_f64 v[38:39], v[38:39], v[42:43]
	;; [unrolled: 5-line block ×3, first 2 shown]
	v_fma_f64 v[50:51], s[20:21], v[30:31], v[48:49]
	v_fma_f64 v[48:49], v[30:31], s[20:21], -v[48:49]
	v_mul_f64 v[52:53], v[28:29], s[18:19]
	v_add_f64 v[48:49], v[48:49], v[56:57]
	v_fma_f64 v[54:55], s[8:9], v[30:31], v[52:53]
	v_fma_f64 v[52:53], v[30:31], s[8:9], -v[52:53]
	v_mul_f64 v[56:57], v[28:29], s[50:51]
	v_add_f64 v[50:51], v[50:51], v[58:59]
	v_add_f64 v[52:53], v[52:53], v[60:61]
	v_fma_f64 v[58:59], s[12:13], v[30:31], v[56:57]
	v_fma_f64 v[56:57], v[30:31], s[12:13], -v[56:57]
	v_mul_f64 v[60:61], v[28:29], s[36:37]
	v_add_f64 v[54:55], v[54:55], v[62:63]
	v_add_f64 v[56:57], v[56:57], v[64:65]
	v_fma_f64 v[62:63], s[34:35], v[30:31], v[60:61]
	v_fma_f64 v[60:61], v[30:31], s[34:35], -v[60:61]
	v_mul_f64 v[64:65], v[28:29], s[46:47]
	v_mul_f64 v[28:29], v[28:29], s[22:23]
	v_add_f64 v[20:21], v[20:21], -v[44:45]
	v_add_f64 v[58:59], v[58:59], v[66:67]
	v_add_f64 v[60:61], v[60:61], v[124:125]
	v_fma_f64 v[66:67], s[26:27], v[30:31], v[64:65]
	v_fma_f64 v[64:65], v[30:31], s[26:27], -v[64:65]
	v_fma_f64 v[124:125], s[14:15], v[30:31], v[28:29]
	v_fma_f64 v[28:29], v[30:31], s[14:15], -v[28:29]
	v_add_f64 v[22:23], v[46:47], v[22:23]
	v_mul_f64 v[30:31], v[20:21], s[24:25]
	v_add_f64 v[28:29], v[28:29], v[32:33]
	v_fma_f64 v[32:33], s[20:21], v[22:23], v[30:31]
	v_fma_f64 v[30:31], v[22:23], s[20:21], -v[30:31]
	v_add_f64 v[30:31], v[30:31], v[34:35]
	v_mul_f64 v[34:35], v[20:21], s[52:53]
	v_add_f64 v[32:33], v[32:33], v[38:39]
	;; [unrolled: 5-line block ×3, first 2 shown]
	v_fma_f64 v[42:43], s[14:15], v[22:23], v[40:41]
	v_fma_f64 v[40:41], v[22:23], s[14:15], -v[40:41]
	v_mul_f64 v[44:45], v[20:21], s[50:51]
	v_add_f64 v[40:41], v[40:41], v[48:49]
	v_fma_f64 v[46:47], s[12:13], v[22:23], v[44:45]
	v_fma_f64 v[44:45], v[22:23], s[12:13], -v[44:45]
	v_mul_f64 v[48:49], v[20:21], s[42:43]
	v_add_f64 v[42:43], v[42:43], v[50:51]
	v_add_f64 v[44:45], v[44:45], v[52:53]
	v_fma_f64 v[50:51], s[38:39], v[22:23], v[48:49]
	v_fma_f64 v[48:49], v[22:23], s[38:39], -v[48:49]
	v_mul_f64 v[52:53], v[20:21], s[10:11]
	v_add_f64 v[46:47], v[46:47], v[54:55]
	v_add_f64 v[48:49], v[48:49], v[56:57]
	v_fma_f64 v[54:55], s[6:7], v[22:23], v[52:53]
	v_fma_f64 v[52:53], v[22:23], s[6:7], -v[52:53]
	v_mul_f64 v[56:57], v[20:21], s[28:29]
	v_mul_f64 v[20:21], v[20:21], s[30:31]
	v_add_f64 v[12:13], v[12:13], -v[24:25]
	v_add_f64 v[50:51], v[50:51], v[58:59]
	v_add_f64 v[52:53], v[52:53], v[60:61]
	v_fma_f64 v[58:59], s[8:9], v[22:23], v[56:57]
	v_fma_f64 v[56:57], v[22:23], s[8:9], -v[56:57]
	v_fma_f64 v[60:61], s[26:27], v[22:23], v[20:21]
	v_fma_f64 v[20:21], v[22:23], s[26:27], -v[20:21]
	v_add_f64 v[14:15], v[26:27], v[14:15]
	v_mul_f64 v[22:23], v[12:13], s[30:31]
	v_fma_f64 v[24:25], s[26:27], v[14:15], v[22:23]
	v_fma_f64 v[22:23], v[14:15], s[26:27], -v[22:23]
	v_mul_f64 v[26:27], v[12:13], s[48:49]
	v_add_f64 v[20:21], v[20:21], v[28:29]
	v_add_f64 v[22:23], v[22:23], v[30:31]
	v_fma_f64 v[28:29], s[20:21], v[14:15], v[26:27]
	v_fma_f64 v[26:27], v[14:15], s[20:21], -v[26:27]
	v_mul_f64 v[30:31], v[12:13], s[28:29]
	v_add_f64 v[24:25], v[24:25], v[32:33]
	v_add_f64 v[26:27], v[26:27], v[34:35]
	v_fma_f64 v[32:33], s[8:9], v[14:15], v[30:31]
	v_fma_f64 v[30:31], v[14:15], s[8:9], -v[30:31]
	v_mul_f64 v[34:35], v[12:13], s[36:37]
	v_add_f64 v[28:29], v[28:29], v[38:39]
	v_add_f64 v[30:31], v[30:31], v[40:41]
	v_fma_f64 v[38:39], s[34:35], v[14:15], v[34:35]
	v_fma_f64 v[34:35], v[14:15], s[34:35], -v[34:35]
	v_mul_f64 v[40:41], v[12:13], s[10:11]
	v_add_f64 v[32:33], v[32:33], v[42:43]
	v_add_f64 v[34:35], v[34:35], v[44:45]
	v_fma_f64 v[42:43], s[6:7], v[14:15], v[40:41]
	v_fma_f64 v[40:41], v[14:15], s[6:7], -v[40:41]
	v_mul_f64 v[44:45], v[12:13], s[44:45]
	v_add_f64 v[38:39], v[38:39], v[46:47]
	v_add_f64 v[40:41], v[40:41], v[48:49]
	v_fma_f64 v[46:47], s[14:15], v[14:15], v[44:45]
	v_fma_f64 v[44:45], v[14:15], s[14:15], -v[44:45]
	v_mul_f64 v[48:49], v[12:13], s[42:43]
	v_mul_f64 v[12:13], v[12:13], s[16:17]
	v_add_f64 v[8:9], v[8:9], -v[16:17]
	v_add_f64 v[42:43], v[42:43], v[50:51]
	v_add_f64 v[44:45], v[44:45], v[52:53]
	v_fma_f64 v[50:51], s[38:39], v[14:15], v[48:49]
	v_fma_f64 v[48:49], v[14:15], s[38:39], -v[48:49]
	v_fma_f64 v[52:53], s[12:13], v[14:15], v[12:13]
	v_fma_f64 v[12:13], v[14:15], s[12:13], -v[12:13]
	v_add_f64 v[10:11], v[18:19], v[10:11]
	v_mul_f64 v[14:15], v[8:9], s[36:37]
	v_fma_f64 v[16:17], s[34:35], v[10:11], v[14:15]
	v_fma_f64 v[14:15], v[10:11], s[34:35], -v[14:15]
	v_mul_f64 v[18:19], v[8:9], s[16:17]
	v_add_f64 v[12:13], v[12:13], v[20:21]
	v_add_f64 v[14:15], v[14:15], v[22:23]
	v_fma_f64 v[20:21], s[12:13], v[10:11], v[18:19]
	v_fma_f64 v[18:19], v[10:11], s[12:13], -v[18:19]
	v_mul_f64 v[22:23], v[8:9], s[40:41]
	v_add_f64 v[138:139], v[138:139], v[146:147]
	v_add_f64 v[16:17], v[16:17], v[24:25]
	;; [unrolled: 1-line block ×3, first 2 shown]
	v_fma_f64 v[24:25], s[6:7], v[10:11], v[22:23]
	v_fma_f64 v[22:23], v[10:11], s[6:7], -v[22:23]
	v_mul_f64 v[26:27], v[8:9], s[46:47]
	v_add_f64 v[130:131], v[130:131], v[138:139]
	v_add_f64 v[20:21], v[20:21], v[28:29]
	;; [unrolled: 1-line block ×3, first 2 shown]
	v_fma_f64 v[28:29], s[26:27], v[10:11], v[26:27]
	v_fma_f64 v[26:27], v[10:11], s[26:27], -v[26:27]
	v_mul_f64 v[30:31], v[8:9], s[28:29]
	v_add_f64 v[0:1], v[0:1], -v[4:5]
	v_add_f64 v[66:67], v[66:67], v[130:131]
	v_add_f64 v[24:25], v[24:25], v[32:33]
	;; [unrolled: 1-line block ×3, first 2 shown]
	v_fma_f64 v[32:33], s[8:9], v[10:11], v[30:31]
	v_fma_f64 v[30:31], v[10:11], s[8:9], -v[30:31]
	v_mul_f64 v[34:35], v[8:9], s[42:43]
	v_add_f64 v[2:3], v[6:7], v[2:3]
	v_mul_f64 v[4:5], v[0:1], s[42:43]
	v_add_f64 v[58:59], v[58:59], v[66:67]
	v_add_f64 v[28:29], v[28:29], v[38:39]
	;; [unrolled: 1-line block ×3, first 2 shown]
	v_fma_f64 v[38:39], s[38:39], v[10:11], v[34:35]
	v_fma_f64 v[34:35], v[10:11], s[38:39], -v[34:35]
	v_mul_f64 v[40:41], v[8:9], s[22:23]
	v_mul_f64 v[8:9], v[8:9], s[24:25]
	v_fma_f64 v[6:7], s[38:39], v[2:3], v[4:5]
	v_fma_f64 v[4:5], v[2:3], s[38:39], -v[4:5]
	v_add_f64 v[134:135], v[134:135], v[142:143]
	v_add_f64 v[136:137], v[136:137], v[144:145]
	;; [unrolled: 1-line block ×5, first 2 shown]
	v_fma_f64 v[44:45], s[20:21], v[10:11], v[8:9]
	v_fma_f64 v[8:9], v[10:11], s[20:21], -v[8:9]
	v_add_f64 v[58:59], v[4:5], v[14:15]
	v_mul_f64 v[4:5], v[0:1], s[18:19]
	v_add_f64 v[126:127], v[126:127], v[134:135]
	v_add_f64 v[128:129], v[128:129], v[136:137]
	;; [unrolled: 1-line block ×4, first 2 shown]
	v_fma_f64 v[42:43], s[14:15], v[10:11], v[40:41]
	v_fma_f64 v[40:41], v[10:11], s[14:15], -v[40:41]
	v_add_f64 v[8:9], v[8:9], v[12:13]
	v_add_f64 v[6:7], v[6:7], v[16:17]
	v_fma_f64 v[10:11], s[8:9], v[2:3], v[4:5]
	v_fma_f64 v[4:5], v[2:3], s[8:9], -v[4:5]
	v_mul_f64 v[12:13], v[0:1], s[36:37]
	v_mul_f64 v[16:17], v[0:1], s[22:23]
	v_add_f64 v[62:63], v[62:63], v[126:127]
	v_add_f64 v[64:65], v[64:65], v[128:129]
	;; [unrolled: 1-line block ×5, first 2 shown]
	v_fma_f64 v[14:15], s[34:35], v[2:3], v[12:13]
	v_fma_f64 v[12:13], v[2:3], s[34:35], -v[12:13]
	v_fma_f64 v[18:19], s[14:15], v[2:3], v[16:17]
	v_mul_f64 v[20:21], v[0:1], s[30:31]
	v_add_f64 v[54:55], v[54:55], v[62:63]
	v_add_f64 v[56:57], v[56:57], v[64:65]
	v_add_f64 v[60:61], v[60:61], v[124:125]
	v_add_f64 v[14:15], v[14:15], v[24:25]
	v_add_f64 v[12:13], v[12:13], v[22:23]
	v_add_f64 v[18:19], v[18:19], v[28:29]
	v_fma_f64 v[22:23], s[26:27], v[2:3], v[20:21]
	v_mul_f64 v[24:25], v[0:1], s[16:17]
	v_mul_f64 v[28:29], v[0:1], s[24:25]
	;; [unrolled: 1-line block ×3, first 2 shown]
	v_add_f64 v[46:47], v[46:47], v[54:55]
	v_add_f64 v[48:49], v[48:49], v[56:57]
	;; [unrolled: 1-line block ×3, first 2 shown]
	v_fma_f64 v[16:17], v[2:3], s[14:15], -v[16:17]
	v_add_f64 v[22:23], v[22:23], v[32:33]
	v_fma_f64 v[20:21], v[2:3], s[26:27], -v[20:21]
	v_fma_f64 v[32:33], s[6:7], v[2:3], v[0:1]
	v_fma_f64 v[0:1], v[2:3], s[6:7], -v[0:1]
	v_add_f64 v[38:39], v[38:39], v[46:47]
	v_add_f64 v[42:43], v[42:43], v[50:51]
	;; [unrolled: 1-line block ×6, first 2 shown]
	v_fma_f64 v[26:27], s[12:13], v[2:3], v[24:25]
	v_fma_f64 v[24:25], v[2:3], s[12:13], -v[24:25]
	v_fma_f64 v[30:31], s[20:21], v[2:3], v[28:29]
	v_fma_f64 v[28:29], v[2:3], s[20:21], -v[28:29]
	v_add_f64 v[0:1], v[0:1], v[8:9]
	v_add_f64 v[26:27], v[26:27], v[38:39]
	;; [unrolled: 1-line block ×6, first 2 shown]
	s_waitcnt lgkmcnt(0)
	s_barrier
	ds_write2_b64 v116, v[36:37], v[6:7] offset1:1
	ds_write2_b64 v116, v[10:11], v[14:15] offset0:2 offset1:3
	ds_write2_b64 v116, v[18:19], v[22:23] offset0:4 offset1:5
	;; [unrolled: 1-line block ×7, first 2 shown]
	ds_write_b64 v116, v[58:59] offset:128
	s_waitcnt lgkmcnt(0)
	s_barrier
	ds_read2_b64 v[16:19], v117 offset0:66 offset1:134
	ds_read2_b64 v[0:3], v91 offset0:68 offset1:136
	;; [unrolled: 1-line block ×4, first 2 shown]
	ds_read_b64 v[118:119], v93
	ds_read_b64 v[116:117], v91 offset:1632
	ds_read_b64 v[64:65], v95
	ds_read_b64 v[60:61], v97
	ds_read2_b64 v[8:11], v120 offset0:90 offset1:158
	ds_read_b64 v[66:67], v99
	ds_read_b64 v[62:63], v122
                                        ; implicit-def: $vgpr120_vgpr121
	s_and_saveexec_b64 s[6:7], s[2:3]
	s_cbranch_execz .LBB0_14
; %bb.13:
	ds_read_b64 v[58:59], v91 offset:4352
	ds_read_b64 v[120:121], v91 offset:8976
.LBB0_14:
	s_or_b64 exec, exec, s[6:7]
	s_movk_i32 s6, 0xf1
	v_mul_lo_u16_sdwa v20, v90, s6 dst_sel:DWORD dst_unused:UNUSED_PAD src0_sel:BYTE_0 src1_sel:DWORD
	v_lshrrev_b16_e32 v125, 12, v20
	v_mul_lo_u16_e32 v20, 17, v125
	v_sub_u16_e32 v148, v90, v20
	v_add_u16_e32 v20, 0x44, v90
	v_mul_lo_u16_sdwa v21, v20, s6 dst_sel:DWORD dst_unused:UNUSED_PAD src0_sel:BYTE_0 src1_sel:DWORD
	v_lshrrev_b16_e32 v149, 12, v21
	v_mov_b32_e32 v29, 4
	v_mul_lo_u16_e32 v21, 17, v149
	v_lshlrev_b32_sdwa v30, v29, v148 dst_sel:DWORD dst_unused:UNUSED_PAD src0_sel:DWORD src1_sel:BYTE_0
	v_sub_u16_e32 v150, v20, v21
	v_lshlrev_b32_sdwa v31, v29, v150 dst_sel:DWORD dst_unused:UNUSED_PAD src0_sel:DWORD src1_sel:BYTE_0
	global_load_dwordx4 v[24:27], v30, s[4:5]
	global_load_dwordx4 v[20:23], v31, s[4:5]
	v_add_u16_e32 v30, 0x88, v90
	v_mul_lo_u16_sdwa v31, v30, s6 dst_sel:DWORD dst_unused:UNUSED_PAD src0_sel:BYTE_0 src1_sel:DWORD
	v_lshrrev_b16_e32 v151, 12, v31
	v_mul_lo_u16_e32 v31, 17, v151
	v_add_u32_e32 v28, 0xcc, v90
	v_sub_u16_e32 v152, v30, v31
	s_mov_b32 s6, 0xf0f1
	v_lshlrev_b32_sdwa v36, v29, v152 dst_sel:DWORD dst_unused:UNUSED_PAD src0_sel:DWORD src1_sel:BYTE_0
	v_mul_u32_u24_sdwa v29, v28, s6 dst_sel:DWORD dst_unused:UNUSED_PAD src0_sel:WORD_0 src1_sel:DWORD
	v_lshrrev_b32_e32 v153, 20, v29
	v_mul_lo_u16_e32 v29, 17, v153
	v_sub_u16_e32 v154, v28, v29
	v_lshlrev_b32_e32 v37, 4, v154
	global_load_dwordx4 v[32:35], v36, s[4:5]
	global_load_dwordx4 v[28:31], v37, s[4:5]
	v_mul_u32_u24_sdwa v36, v94, s6 dst_sel:DWORD dst_unused:UNUSED_PAD src0_sel:WORD_0 src1_sel:DWORD
	v_lshrrev_b32_e32 v155, 20, v36
	v_mul_lo_u16_e32 v36, 17, v155
	v_sub_u16_e32 v156, v94, v36
	v_mul_u32_u24_sdwa v36, v96, s6 dst_sel:DWORD dst_unused:UNUSED_PAD src0_sel:WORD_0 src1_sel:DWORD
	v_lshrrev_b32_e32 v157, 20, v36
	v_mul_lo_u16_e32 v36, 17, v157
	v_lshlrev_b32_e32 v44, 4, v156
	v_sub_u16_e32 v158, v96, v36
	v_lshlrev_b32_e32 v45, 4, v158
	global_load_dwordx4 v[40:43], v44, s[4:5]
	global_load_dwordx4 v[36:39], v45, s[4:5]
	v_add_u32_e32 v124, 0x220, v90
	v_mul_u32_u24_sdwa v44, v98, s6 dst_sel:DWORD dst_unused:UNUSED_PAD src0_sel:WORD_0 src1_sel:DWORD
	v_mul_u32_u24_sdwa v45, v92, s6 dst_sel:DWORD dst_unused:UNUSED_PAD src0_sel:WORD_0 src1_sel:DWORD
	v_lshrrev_b32_e32 v159, 20, v44
	v_lshrrev_b32_e32 v161, 20, v45
	v_mul_u32_u24_sdwa v52, v124, s6 dst_sel:DWORD dst_unused:UNUSED_PAD src0_sel:WORD_0 src1_sel:DWORD
	v_mul_lo_u16_e32 v44, 17, v159
	v_mul_lo_u16_e32 v45, 17, v161
	v_lshrrev_b32_e32 v163, 20, v52
	v_sub_u16_e32 v160, v98, v44
	v_sub_u16_e32 v162, v92, v45
	v_mul_lo_u16_e32 v52, 17, v163
	v_lshlrev_b32_e32 v44, 4, v160
	v_lshlrev_b32_e32 v45, 4, v162
	v_sub_u16_e32 v164, v124, v52
	global_load_dwordx4 v[48:51], v44, s[4:5]
	s_nop 0
	global_load_dwordx4 v[44:47], v45, s[4:5]
	v_lshlrev_b32_e32 v52, 4, v164
	global_load_dwordx4 v[52:55], v52, s[4:5]
	s_movk_i32 s6, 0x110
	s_waitcnt lgkmcnt(0)
	s_barrier
	s_mov_b32 s7, 0x5040100
	s_waitcnt vmcnt(8)
	v_mul_f64 v[56:57], v[16:17], v[26:27]
	s_waitcnt vmcnt(7)
	v_mul_f64 v[126:127], v[18:19], v[22:23]
	v_fma_f64 v[126:127], v[74:75], v[20:21], -v[126:127]
	v_add_f64 v[126:127], v[84:85], -v[126:127]
	v_fma_f64 v[56:57], v[72:73], v[24:25], -v[56:57]
	v_fma_f64 v[144:145], v[84:85], 2.0, -v[126:127]
	v_mad_u32_u24 v84, v125, s6, 0
	v_add_f64 v[142:143], v[110:111], -v[56:57]
	v_fma_f64 v[110:111], v[110:111], 2.0, -v[142:143]
	s_waitcnt vmcnt(6)
	v_mul_f64 v[128:129], v[12:13], v[34:35]
	v_fma_f64 v[128:129], v[68:69], v[32:33], -v[128:129]
	v_add_f64 v[128:129], v[86:87], -v[128:129]
	v_fma_f64 v[146:147], v[86:87], 2.0, -v[128:129]
	v_mov_b32_e32 v86, 3
	v_lshlrev_b32_sdwa v85, v86, v148 dst_sel:DWORD dst_unused:UNUSED_PAD src0_sel:DWORD src1_sel:BYTE_0
	s_waitcnt vmcnt(5)
	v_mul_f64 v[130:131], v[14:15], v[30:31]
	v_add3_u32 v84, v84, v85, v123
	v_mad_u32_u24 v85, v149, s6, 0
	v_lshlrev_b32_sdwa v87, v86, v150 dst_sel:DWORD dst_unused:UNUSED_PAD src0_sel:DWORD src1_sel:BYTE_0
	v_fma_f64 v[130:131], v[70:71], v[28:29], -v[130:131]
	v_add3_u32 v85, v85, v87, v123
	v_mad_u32_u24 v87, v151, s6, 0
	v_lshlrev_b32_sdwa v86, v86, v152 dst_sel:DWORD dst_unused:UNUSED_PAD src0_sel:DWORD src1_sel:BYTE_0
	v_add_f64 v[130:131], v[104:105], -v[130:131]
	ds_write2_b64 v84, v[110:111], v[142:143] offset1:17
	v_add3_u32 v86, v87, v86, v123
	v_mad_u32_u24 v87, v153, s6, 0
	v_lshlrev_b32_e32 v110, 3, v154
	v_fma_f64 v[104:105], v[104:105], 2.0, -v[130:131]
	v_add3_u32 v87, v87, v110, v123
	ds_write2_b64 v85, v[144:145], v[126:127] offset1:17
	ds_write2_b64 v86, v[146:147], v[128:129] offset1:17
	;; [unrolled: 1-line block ×3, first 2 shown]
	v_perm_b32 v104, v157, v155, s7
	s_waitcnt vmcnt(4)
	v_mul_f64 v[132:133], v[4:5], v[42:43]
	v_pk_mul_lo_u16 v105, v104, s6 op_sel_hi:[1,0]
	v_fma_f64 v[132:133], v[76:77], v[40:41], -v[132:133]
	v_and_b32_e32 v104, 0xfff0, v105
	v_add_f64 v[132:133], v[106:107], -v[132:133]
	v_add_u32_e32 v104, 0, v104
	v_lshlrev_b32_e32 v110, 3, v156
	v_fma_f64 v[106:107], v[106:107], 2.0, -v[132:133]
	v_add3_u32 v104, v104, v110, v123
	s_waitcnt vmcnt(3)
	v_mul_f64 v[134:135], v[6:7], v[38:39]
	ds_write2_b64 v104, v[106:107], v[132:133] offset1:17
	v_mov_b32_e32 v106, 0
	v_fma_f64 v[134:135], v[78:79], v[36:37], -v[134:135]
	v_add_u32_sdwa v105, v106, v105 dst_sel:DWORD dst_unused:UNUSED_PAD src0_sel:DWORD src1_sel:WORD_1
	v_lshlrev_b32_e32 v107, 3, v158
	v_add_f64 v[134:135], v[108:109], -v[134:135]
	v_add3_u32 v105, v105, v107, v123
	v_perm_b32 v107, v161, v159, s7
	s_waitcnt vmcnt(2)
	v_mul_f64 v[136:137], v[8:9], v[50:51]
	s_waitcnt vmcnt(1)
	v_mul_f64 v[138:139], v[10:11], v[46:47]
	v_fma_f64 v[108:109], v[108:109], 2.0, -v[134:135]
	v_pk_mul_lo_u16 v107, v107, s6 op_sel_hi:[1,0]
	s_waitcnt vmcnt(0)
	v_mul_f64 v[140:141], v[120:121], v[54:55]
	v_fma_f64 v[136:137], v[80:81], v[48:49], -v[136:137]
	v_fma_f64 v[138:139], v[82:83], v[44:45], -v[138:139]
	ds_write2_b64 v105, v[108:109], v[134:135] offset1:17
	v_and_b32_e32 v108, 0xfff0, v107
	v_fma_f64 v[140:141], v[102:103], v[52:53], -v[140:141]
	v_add_f64 v[136:137], v[114:115], -v[136:137]
	v_add_f64 v[138:139], v[112:113], -v[138:139]
	v_add_u32_e32 v108, 0, v108
	v_lshlrev_b32_e32 v109, 3, v160
	v_add_u32_sdwa v106, v106, v107 dst_sel:DWORD dst_unused:UNUSED_PAD src0_sel:DWORD src1_sel:WORD_1
	v_lshlrev_b32_e32 v107, 3, v162
	v_fma_f64 v[114:115], v[114:115], 2.0, -v[136:137]
	v_fma_f64 v[112:113], v[112:113], 2.0, -v[138:139]
	v_add_f64 v[56:57], v[100:101], -v[140:141]
	v_add3_u32 v108, v108, v109, v123
	v_add3_u32 v109, v106, v107, v123
	v_mul_lo_u16_e32 v106, 34, v163
	v_lshl_add_u32 v107, v164, 3, 0
	ds_write2_b64 v108, v[114:115], v[136:137] offset1:17
	ds_write2_b64 v109, v[112:113], v[138:139] offset1:17
	s_and_saveexec_b64 s[6:7], s[2:3]
	s_cbranch_execz .LBB0_16
; %bb.15:
	v_lshlrev_b32_e32 v110, 3, v106
	v_fma_f64 v[100:101], v[100:101], 2.0, -v[56:57]
	v_add3_u32 v110, v107, v110, v123
	ds_write2_b64 v110, v[100:101], v[56:57] offset1:17
.LBB0_16:
	s_or_b64 exec, exec, s[6:7]
	v_mul_f64 v[26:27], v[72:73], v[26:27]
	v_fmac_f64_e32 v[26:27], v[16:17], v[24:25]
	v_mul_f64 v[16:17], v[74:75], v[22:23]
	v_fmac_f64_e32 v[16:17], v[18:19], v[20:21]
	;; [unrolled: 2-line block ×8, first 2 shown]
	v_mul_f64 v[10:11], v[102:103], v[54:55]
	v_add_f64 v[30:31], v[0:1], -v[16:17]
	v_add_f64 v[38:39], v[2:3], -v[18:19]
	s_waitcnt lgkmcnt(0)
	s_barrier
	ds_read2_b64 v[16:19], v91 offset0:68 offset1:136
	ds_read_b64 v[44:45], v93
	ds_read_b64 v[22:23], v91 offset:1632
	ds_read_b64 v[34:35], v97
	ds_read_b64 v[28:29], v99
	;; [unrolled: 1-line block ×3, first 2 shown]
	v_fmac_f64_e32 v[10:11], v[120:121], v[52:53]
	v_add_f64 v[52:53], v[64:65], -v[14:15]
	v_add_u32_e32 v80, 0x1000, v91
	v_add_u32_e32 v43, 0x1800, v91
	v_fma_f64 v[32:33], v[0:1], 2.0, -v[30:31]
	v_fma_f64 v[46:47], v[2:3], 2.0, -v[38:39]
	v_add_f64 v[48:49], v[116:117], -v[12:13]
	v_fma_f64 v[54:55], v[64:65], 2.0, -v[52:53]
	v_add_f64 v[64:65], v[60:61], -v[4:5]
	v_add_f64 v[68:69], v[66:67], -v[6:7]
	;; [unrolled: 1-line block ×4, first 2 shown]
	ds_read2_b64 v[12:15], v80 offset0:32 offset1:100
	ds_read2_b64 v[8:11], v80 offset0:168 offset1:236
	;; [unrolled: 1-line block ×4, first 2 shown]
	ds_read_b64 v[36:37], v95
	ds_read_b64 v[70:71], v91 offset:8704
	v_add_f64 v[20:21], v[118:119], -v[26:27]
	v_fma_f64 v[26:27], v[118:119], 2.0, -v[20:21]
	v_fma_f64 v[50:51], v[116:117], 2.0, -v[48:49]
	;; [unrolled: 1-line block ×5, first 2 shown]
	s_waitcnt lgkmcnt(0)
	s_barrier
	ds_write2_b64 v84, v[26:27], v[20:21] offset1:17
	ds_write2_b64 v85, v[32:33], v[30:31] offset1:17
	;; [unrolled: 1-line block ×8, first 2 shown]
	s_and_saveexec_b64 s[6:7], s[2:3]
	s_cbranch_execz .LBB0_18
; %bb.17:
	v_lshlrev_b32_e32 v26, 3, v106
	v_fma_f64 v[20:21], v[58:59], 2.0, -v[40:41]
	v_add3_u32 v26, v107, v26, v123
	ds_write2_b64 v26, v[20:21], v[40:41] offset1:17
.LBB0_18:
	s_or_b64 exec, exec, s[6:7]
	v_subrev_u32_e32 v42, 34, v90
	v_cndmask_b32_e64 v81, v42, v90, s[2:3]
	v_lshlrev_b32_e32 v20, 4, v81
	v_mov_b32_e32 v21, 0
	v_lshl_add_u64 v[20:21], v[20:21], 4, s[4:5]
	s_waitcnt lgkmcnt(0)
	s_barrier
	global_load_dwordx4 v[30:33], v[20:21], off offset:272
	global_load_dwordx4 v[48:51], v[20:21], off offset:288
	;; [unrolled: 1-line block ×16, first 2 shown]
	ds_read2_b64 v[66:69], v91 offset0:68 offset1:136
	ds_read_b64 v[74:75], v93
	ds_read_b64 v[38:39], v91 offset:1632
	ds_read_b64 v[72:73], v97
	ds_read_b64 v[86:87], v99
	;; [unrolled: 1-line block ×3, first 2 shown]
	ds_read2_b64 v[154:157], v80 offset0:32 offset1:100
	ds_read2_b64 v[158:161], v80 offset0:168 offset1:236
	;; [unrolled: 1-line block ×4, first 2 shown]
	ds_read_b64 v[170:171], v95
	ds_read_b64 v[172:173], v91 offset:8704
	s_mov_b32 s14, 0x5d8e7cdc
	s_mov_b32 s24, 0x2a9d6da3
	;; [unrolled: 1-line block ×48, first 2 shown]
	v_cmp_lt_u32_e32 vcc, 33, v90
	s_waitcnt lgkmcnt(0)
	s_barrier
	s_waitcnt vmcnt(15)
	v_mul_f64 v[20:21], v[66:67], v[32:33]
	s_waitcnt vmcnt(14)
	v_mul_f64 v[26:27], v[68:69], v[50:51]
	v_mul_f64 v[106:107], v[16:17], v[32:33]
	;; [unrolled: 1-line block ×3, first 2 shown]
	s_waitcnt vmcnt(13)
	v_mul_f64 v[50:51], v[38:39], v[54:55]
	v_mul_f64 v[64:65], v[22:23], v[54:55]
	s_waitcnt vmcnt(12)
	v_mul_f64 v[62:63], v[170:171], v[60:61]
	v_mul_f64 v[54:55], v[36:37], v[60:61]
	s_waitcnt vmcnt(11)
	v_mul_f64 v[60:61], v[72:73], v[84:85]
	v_fma_f64 v[78:79], v[18:19], v[48:49], -v[26:27]
	s_waitcnt vmcnt(9)
	v_mul_f64 v[18:19], v[104:105], v[112:113]
	v_mul_f64 v[26:27], v[24:25], v[112:113]
	s_waitcnt vmcnt(4)
	v_mul_f64 v[112:113], v[162:163], v[136:137]
	v_fma_f64 v[108:109], v[16:17], v[30:31], -v[20:21]
	v_fmac_f64_e32 v[106:107], v[66:67], v[30:31]
	v_mul_f64 v[16:17], v[86:87], v[102:103]
	v_mul_f64 v[32:33], v[28:29], v[102:103]
	v_fmac_f64_e32 v[76:77], v[68:69], v[48:49]
	v_mul_f64 v[68:69], v[154:155], v[116:117]
	v_mul_f64 v[20:21], v[12:13], v[116:117]
	v_fma_f64 v[66:67], v[22:23], v[52:53], -v[50:51]
	v_fmac_f64_e32 v[64:65], v[38:39], v[52:53]
	v_fma_f64 v[62:63], v[36:37], v[58:59], -v[62:63]
	v_fmac_f64_e32 v[54:55], v[170:171], v[58:59]
	v_mul_f64 v[52:53], v[4:5], v[136:137]
	s_waitcnt vmcnt(3)
	v_mul_f64 v[116:117], v[164:165], v[140:141]
	v_fma_f64 v[58:59], v[34:35], v[82:83], -v[60:61]
	v_fma_f64 v[60:61], v[4:5], v[134:135], -v[112:113]
	s_waitcnt vmcnt(2)
	v_mul_f64 v[4:5], v[166:167], v[144:145]
	v_mul_f64 v[46:47], v[34:35], v[84:85]
	v_fma_f64 v[48:49], v[28:29], v[100:101], -v[16:17]
	v_fmac_f64_e32 v[32:33], v[86:87], v[100:101]
	v_fma_f64 v[34:35], v[24:25], v[110:111], -v[18:19]
	v_fma_f64 v[24:25], v[12:13], v[114:115], -v[68:69]
	;; [unrolled: 1-line block ×4, first 2 shown]
	v_mul_f64 v[100:101], v[0:1], v[144:145]
	s_waitcnt vmcnt(1)
	v_mul_f64 v[0:1], v[168:169], v[148:149]
	s_waitcnt vmcnt(0)
	v_mul_f64 v[116:117], v[70:71], v[152:153]
	v_fmac_f64_e32 v[26:27], v[104:105], v[110:111]
	v_fma_f64 v[110:111], v[2:3], v[146:147], -v[0:1]
	v_mul_f64 v[0:1], v[172:173], v[152:153]
	v_fmac_f64_e32 v[116:117], v[172:173], v[150:151]
	v_mul_f64 v[84:85], v[156:157], v[120:121]
	v_mul_f64 v[22:23], v[14:15], v[120:121]
	;; [unrolled: 1-line block ×4, first 2 shown]
	v_fmac_f64_e32 v[20:21], v[154:155], v[114:115]
	v_fma_f64 v[114:115], v[70:71], v[150:151], -v[0:1]
	v_add_f64 v[4:5], v[106:107], -v[116:117]
	v_mul_f64 v[30:31], v[8:9], v[128:129]
	v_mul_f64 v[38:39], v[10:11], v[132:133]
	v_fmac_f64_e32 v[46:47], v[72:73], v[82:83]
	v_fma_f64 v[28:29], v[14:15], v[118:119], -v[84:85]
	v_fmac_f64_e32 v[22:23], v[156:157], v[118:119]
	v_fma_f64 v[36:37], v[8:9], v[126:127], -v[50:51]
	v_fma_f64 v[50:51], v[10:11], v[130:131], -v[102:103]
	v_mul_f64 v[72:73], v[6:7], v[140:141]
	v_mul_f64 v[112:113], v[2:3], v[148:149]
	v_add_f64 v[2:3], v[108:109], v[114:115]
	v_mul_f64 v[6:7], v[4:5], s[14:15]
	v_mul_f64 v[10:11], v[4:5], s[24:25]
	;; [unrolled: 1-line block ×8, first 2 shown]
	v_fmac_f64_e32 v[30:31], v[158:159], v[126:127]
	v_fmac_f64_e32 v[112:113], v[168:169], v[146:147]
	v_fma_f64 v[8:9], v[2:3], s[6:7], -v[6:7]
	v_fmac_f64_e32 v[6:7], s[6:7], v[2:3]
	v_fma_f64 v[12:13], v[2:3], s[8:9], -v[10:11]
	;; [unrolled: 2-line block ×8, first 2 shown]
	v_fmac_f64_e32 v[4:5], s[36:37], v[2:3]
	v_add_f64 v[0:1], v[44:45], v[108:109]
	v_add_f64 v[8:9], v[44:45], v[8:9]
	;; [unrolled: 1-line block ×17, first 2 shown]
	v_add_f64 v[44:45], v[76:77], -v[112:113]
	v_add_f64 v[4:5], v[78:79], v[110:111]
	v_mul_f64 v[128:129], v[44:45], s[24:25]
	v_fmac_f64_e32 v[38:39], v[160:161], v[130:131]
	v_fma_f64 v[130:131], v[4:5], s[8:9], -v[128:129]
	v_fmac_f64_e32 v[128:129], s[8:9], v[4:5]
	v_add_f64 v[6:7], v[128:129], v[6:7]
	v_mul_f64 v[128:129], v[44:45], s[26:27]
	v_add_f64 v[8:9], v[130:131], v[8:9]
	v_fma_f64 v[130:131], v[4:5], s[12:13], -v[128:129]
	v_fmac_f64_e32 v[128:129], s[12:13], v[4:5]
	v_add_f64 v[10:11], v[128:129], v[10:11]
	v_mul_f64 v[128:129], v[44:45], s[20:21]
	v_add_f64 v[12:13], v[130:131], v[12:13]
	v_fma_f64 v[130:131], v[4:5], s[22:23], -v[128:129]
	v_fmac_f64_e32 v[128:129], s[22:23], v[4:5]
	v_add_f64 v[14:15], v[128:129], v[14:15]
	v_mul_f64 v[128:129], v[44:45], s[34:35]
	v_add_f64 v[16:17], v[130:131], v[16:17]
	v_fma_f64 v[130:131], v[4:5], s[36:37], -v[128:129]
	v_fmac_f64_e32 v[128:129], s[36:37], v[4:5]
	v_add_f64 v[18:19], v[128:129], v[18:19]
	v_mul_f64 v[128:129], v[44:45], s[48:49]
	v_add_f64 v[70:71], v[130:131], v[70:71]
	v_fma_f64 v[130:131], v[4:5], s[30:31], -v[128:129]
	v_fmac_f64_e32 v[128:129], s[30:31], v[4:5]
	v_add_f64 v[82:83], v[128:129], v[82:83]
	v_mul_f64 v[128:129], v[44:45], s[46:47]
	v_add_f64 v[84:85], v[130:131], v[84:85]
	v_fma_f64 v[130:131], v[4:5], s[18:19], -v[128:129]
	v_fmac_f64_e32 v[128:129], s[18:19], v[4:5]
	v_add_f64 v[102:103], v[128:129], v[102:103]
	v_mul_f64 v[128:129], v[44:45], s[40:41]
	v_add_f64 v[104:105], v[130:131], v[104:105]
	v_fma_f64 v[130:131], v[4:5], s[10:11], -v[128:129]
	v_fmac_f64_e32 v[128:129], s[10:11], v[4:5]
	v_mul_f64 v[44:45], v[44:45], s[42:43]
	v_fmac_f64_e32 v[100:101], v[166:167], v[142:143]
	v_add_f64 v[118:119], v[128:129], v[118:119]
	v_fma_f64 v[128:129], v[4:5], s[6:7], -v[44:45]
	v_fmac_f64_e32 v[44:45], s[6:7], v[4:5]
	v_add_f64 v[2:3], v[44:45], v[2:3]
	v_add_f64 v[44:45], v[64:65], -v[100:101]
	v_add_f64 v[126:127], v[128:129], v[126:127]
	v_add_f64 v[4:5], v[66:67], v[86:87]
	v_mul_f64 v[128:129], v[44:45], s[38:39]
	v_add_f64 v[120:121], v[130:131], v[120:121]
	v_fma_f64 v[130:131], v[4:5], s[10:11], -v[128:129]
	v_fmac_f64_e32 v[128:129], s[10:11], v[4:5]
	v_add_f64 v[6:7], v[128:129], v[6:7]
	v_mul_f64 v[128:129], v[44:45], s[20:21]
	v_add_f64 v[8:9], v[130:131], v[8:9]
	v_fma_f64 v[130:131], v[4:5], s[22:23], -v[128:129]
	v_fmac_f64_e32 v[128:129], s[22:23], v[4:5]
	v_add_f64 v[10:11], v[128:129], v[10:11]
	v_mul_f64 v[128:129], v[44:45], s[54:55]
	v_add_f64 v[12:13], v[130:131], v[12:13]
	v_fma_f64 v[130:131], v[4:5], s[36:37], -v[128:129]
	v_fmac_f64_e32 v[128:129], s[36:37], v[4:5]
	v_add_f64 v[14:15], v[128:129], v[14:15]
	v_mul_f64 v[128:129], v[44:45], s[46:47]
	v_add_f64 v[16:17], v[130:131], v[16:17]
	v_fma_f64 v[130:131], v[4:5], s[18:19], -v[128:129]
	v_fmac_f64_e32 v[128:129], s[18:19], v[4:5]
	v_add_f64 v[18:19], v[128:129], v[18:19]
	v_mul_f64 v[128:129], v[44:45], s[44:45]
	v_add_f64 v[70:71], v[130:131], v[70:71]
	v_fma_f64 v[130:131], v[4:5], s[8:9], -v[128:129]
	v_fmac_f64_e32 v[128:129], s[8:9], v[4:5]
	v_add_f64 v[82:83], v[128:129], v[82:83]
	v_mul_f64 v[128:129], v[44:45], s[14:15]
	v_add_f64 v[84:85], v[130:131], v[84:85]
	v_fma_f64 v[130:131], v[4:5], s[6:7], -v[128:129]
	v_fmac_f64_e32 v[128:129], s[6:7], v[4:5]
	v_add_f64 v[102:103], v[128:129], v[102:103]
	v_mul_f64 v[128:129], v[44:45], s[26:27]
	v_add_f64 v[104:105], v[130:131], v[104:105]
	v_fma_f64 v[130:131], v[4:5], s[12:13], -v[128:129]
	v_fmac_f64_e32 v[128:129], s[12:13], v[4:5]
	v_mul_f64 v[44:45], v[44:45], s[28:29]
	v_fmac_f64_e32 v[72:73], v[164:165], v[138:139]
	v_add_f64 v[118:119], v[128:129], v[118:119]
	v_fma_f64 v[128:129], v[4:5], s[30:31], -v[44:45]
	v_fmac_f64_e32 v[44:45], s[30:31], v[4:5]
	v_add_f64 v[2:3], v[44:45], v[2:3]
	v_add_f64 v[44:45], v[54:55], -v[72:73]
	v_add_f64 v[126:127], v[128:129], v[126:127]
	v_add_f64 v[4:5], v[62:63], v[68:69]
	v_mul_f64 v[128:129], v[44:45], s[26:27]
	v_add_f64 v[120:121], v[130:131], v[120:121]
	;; [unrolled: 43-line block ×3, first 2 shown]
	v_fma_f64 v[130:131], v[4:5], s[18:19], -v[128:129]
	v_fmac_f64_e32 v[128:129], s[18:19], v[4:5]
	v_add_f64 v[6:7], v[128:129], v[6:7]
	v_mul_f64 v[128:129], v[44:45], s[48:49]
	v_add_f64 v[8:9], v[130:131], v[8:9]
	v_fma_f64 v[130:131], v[4:5], s[30:31], -v[128:129]
	v_fmac_f64_e32 v[128:129], s[30:31], v[4:5]
	v_add_f64 v[10:11], v[128:129], v[10:11]
	v_mul_f64 v[128:129], v[44:45], s[44:45]
	v_add_f64 v[12:13], v[130:131], v[12:13]
	;; [unrolled: 5-line block ×6, first 2 shown]
	v_fma_f64 v[130:131], v[4:5], s[6:7], -v[128:129]
	v_fmac_f64_e32 v[128:129], s[6:7], v[4:5]
	v_mul_f64 v[44:45], v[44:45], s[20:21]
	v_add_f64 v[118:119], v[128:129], v[118:119]
	v_fma_f64 v[128:129], v[4:5], s[22:23], -v[44:45]
	v_fmac_f64_e32 v[44:45], s[22:23], v[4:5]
	v_add_f64 v[2:3], v[44:45], v[2:3]
	v_add_f64 v[44:45], v[32:33], -v[38:39]
	v_add_f64 v[126:127], v[128:129], v[126:127]
	v_add_f64 v[4:5], v[48:49], v[50:51]
	v_mul_f64 v[128:129], v[44:45], s[20:21]
	v_add_f64 v[120:121], v[130:131], v[120:121]
	v_fma_f64 v[130:131], v[4:5], s[22:23], -v[128:129]
	v_fmac_f64_e32 v[128:129], s[22:23], v[4:5]
	v_add_f64 v[6:7], v[128:129], v[6:7]
	v_mul_f64 v[128:129], v[44:45], s[46:47]
	v_add_f64 v[8:9], v[130:131], v[8:9]
	v_fma_f64 v[130:131], v[4:5], s[18:19], -v[128:129]
	v_fmac_f64_e32 v[128:129], s[18:19], v[4:5]
	;; [unrolled: 5-line block ×7, first 2 shown]
	v_mul_f64 v[44:45], v[44:45], s[40:41]
	v_add_f64 v[118:119], v[128:129], v[118:119]
	v_fma_f64 v[128:129], v[4:5], s[10:11], -v[44:45]
	v_fmac_f64_e32 v[44:45], s[10:11], v[4:5]
	v_add_f64 v[2:3], v[44:45], v[2:3]
	v_add_f64 v[44:45], v[26:27], -v[30:31]
	v_add_f64 v[126:127], v[128:129], v[126:127]
	v_add_f64 v[4:5], v[34:35], v[36:37]
	v_mul_f64 v[128:129], v[44:45], s[28:29]
	v_add_f64 v[120:121], v[130:131], v[120:121]
	v_fma_f64 v[130:131], v[4:5], s[30:31], -v[128:129]
	v_fmac_f64_e32 v[128:129], s[30:31], v[4:5]
	v_add_f64 v[6:7], v[128:129], v[6:7]
	v_mul_f64 v[128:129], v[44:45], s[40:41]
	v_add_f64 v[8:9], v[130:131], v[8:9]
	v_fma_f64 v[130:131], v[4:5], s[10:11], -v[128:129]
	v_fmac_f64_e32 v[128:129], s[10:11], v[4:5]
	;; [unrolled: 5-line block ×7, first 2 shown]
	v_mul_f64 v[44:45], v[44:45], s[16:17]
	v_add_f64 v[118:119], v[128:129], v[118:119]
	v_fma_f64 v[128:129], v[4:5], s[18:19], -v[44:45]
	v_add_f64 v[126:127], v[128:129], v[126:127]
	v_fmac_f64_e32 v[44:45], s[18:19], v[4:5]
	v_add_f64 v[128:129], v[20:21], -v[22:23]
	v_add_f64 v[2:3], v[44:45], v[2:3]
	v_add_f64 v[4:5], v[24:25], v[28:29]
	v_mul_f64 v[44:45], v[128:129], s[34:35]
	v_add_f64 v[120:121], v[130:131], v[120:121]
	v_fma_f64 v[130:131], v[4:5], s[36:37], -v[44:45]
	v_fmac_f64_e32 v[44:45], s[36:37], v[4:5]
	v_add_f64 v[44:45], v[44:45], v[6:7]
	v_mul_f64 v[6:7], v[128:129], s[42:43]
	v_add_f64 v[8:9], v[130:131], v[8:9]
	v_fma_f64 v[130:131], v[4:5], s[6:7], -v[6:7]
	v_fmac_f64_e32 v[6:7], s[6:7], v[4:5]
	v_add_f64 v[6:7], v[6:7], v[10:11]
	v_mul_f64 v[10:11], v[128:129], s[28:29]
	v_add_f64 v[0:1], v[0:1], v[78:79]
	v_add_f64 v[12:13], v[130:131], v[12:13]
	v_fma_f64 v[130:131], v[4:5], s[30:31], -v[10:11]
	v_fmac_f64_e32 v[10:11], s[30:31], v[4:5]
	v_add_f64 v[0:1], v[0:1], v[66:67]
	v_add_f64 v[10:11], v[10:11], v[14:15]
	v_mul_f64 v[14:15], v[128:129], s[44:45]
	v_add_f64 v[0:1], v[0:1], v[62:63]
	v_add_f64 v[16:17], v[130:131], v[16:17]
	v_fma_f64 v[130:131], v[4:5], s[8:9], -v[14:15]
	v_fmac_f64_e32 v[14:15], s[8:9], v[4:5]
	v_add_f64 v[0:1], v[0:1], v[58:59]
	;; [unrolled: 7-line block ×5, first 2 shown]
	v_add_f64 v[102:103], v[102:103], v[118:119]
	v_mul_f64 v[118:119], v[128:129], s[50:51]
	v_add_f64 v[0:1], v[0:1], v[60:61]
	v_add_f64 v[130:131], v[130:131], v[120:121]
	v_fma_f64 v[120:121], v[4:5], s[12:13], -v[118:119]
	v_fmac_f64_e32 v[118:119], s[12:13], v[4:5]
	v_mov_b32_e32 v4, 0x1210
	v_add_f64 v[0:1], v[0:1], v[68:69]
	v_cndmask_b32_e32 v4, 0, v4, vcc
	v_add_f64 v[0:1], v[0:1], v[86:87]
	v_add_u32_e32 v4, 0, v4
	v_lshlrev_b32_e32 v5, 3, v81
	v_add_f64 v[0:1], v[0:1], v[110:111]
	v_add_f64 v[126:127], v[120:121], v[126:127]
	v_add3_u32 v120, v4, v5, v123
	v_add_f64 v[0:1], v[0:1], v[114:115]
	v_add_f64 v[2:3], v[118:119], v[2:3]
	v_add_u32_e32 v121, 0x800, v120
	v_add_u32_e32 v123, 0x1400, v91
	ds_write2_b64 v120, v[0:1], v[8:9] offset1:34
	ds_write2_b64 v120, v[12:13], v[16:17] offset0:68 offset1:102
	ds_write2_b64 v120, v[70:71], v[84:85] offset0:136 offset1:170
	ds_write2_b64 v120, v[104:105], v[130:131] offset0:204 offset1:238
	ds_write2_b64 v121, v[126:127], v[2:3] offset0:16 offset1:50
	ds_write2_b64 v121, v[102:103], v[82:83] offset0:84 offset1:118
	ds_write2_b64 v121, v[18:19], v[14:15] offset0:152 offset1:186
	ds_write2_b64 v121, v[10:11], v[6:7] offset0:220 offset1:254
	ds_write_b64 v120, v[44:45] offset:4352
	s_waitcnt lgkmcnt(0)
	s_barrier
	ds_read2_b64 v[0:3], v80 offset0:66 offset1:134
	ds_read2_b64 v[4:7], v91 offset0:68 offset1:136
	;; [unrolled: 1-line block ×4, first 2 shown]
	ds_read_b64 v[70:71], v93
	ds_read_b64 v[80:81], v91 offset:1632
	ds_read_b64 v[82:83], v95
	ds_read_b64 v[84:85], v97
	v_add_u32_e32 v43, 0x1c00, v91
	ds_read2_b64 v[16:19], v43 offset0:90 offset1:158
	ds_read_b64 v[102:103], v99
	ds_read_b64 v[104:105], v122
	s_and_saveexec_b64 s[56:57], s[2:3]
	s_cbranch_execz .LBB0_20
; %bb.19:
	ds_read_b64 v[44:45], v91 offset:4352
	ds_read_b64 v[56:57], v91 offset:8976
.LBB0_20:
	s_or_b64 exec, exec, s[56:57]
	v_add_f64 v[118:119], v[74:75], v[106:107]
	v_add_f64 v[118:119], v[118:119], v[76:77]
	;; [unrolled: 1-line block ×14, first 2 shown]
	v_add_f64 v[108:109], v[108:109], -v[114:115]
	v_add_f64 v[118:119], v[118:119], v[112:113]
	v_add_f64 v[106:107], v[106:107], v[116:117]
	v_mul_f64 v[114:115], v[108:109], s[14:15]
	v_mul_f64 v[126:127], v[108:109], s[24:25]
	;; [unrolled: 1-line block ×8, first 2 shown]
	v_add_f64 v[118:119], v[118:119], v[116:117]
	v_fma_f64 v[116:117], s[6:7], v[106:107], v[114:115]
	v_fma_f64 v[114:115], v[106:107], s[6:7], -v[114:115]
	v_fma_f64 v[128:129], s[8:9], v[106:107], v[126:127]
	v_fma_f64 v[126:127], v[106:107], s[8:9], -v[126:127]
	;; [unrolled: 2-line block ×8, first 2 shown]
	v_add_f64 v[78:79], v[78:79], -v[110:111]
	v_add_f64 v[116:117], v[74:75], v[116:117]
	v_add_f64 v[114:115], v[74:75], v[114:115]
	;; [unrolled: 1-line block ×17, first 2 shown]
	v_mul_f64 v[106:107], v[78:79], s[24:25]
	v_fma_f64 v[108:109], s[8:9], v[76:77], v[106:107]
	v_fma_f64 v[106:107], v[76:77], s[8:9], -v[106:107]
	v_mul_f64 v[110:111], v[78:79], s[26:27]
	v_add_f64 v[106:107], v[106:107], v[114:115]
	v_fma_f64 v[112:113], s[12:13], v[76:77], v[110:111]
	v_fma_f64 v[110:111], v[76:77], s[12:13], -v[110:111]
	v_mul_f64 v[114:115], v[78:79], s[20:21]
	v_add_f64 v[108:109], v[108:109], v[116:117]
	v_add_f64 v[110:111], v[110:111], v[126:127]
	v_fma_f64 v[116:117], s[22:23], v[76:77], v[114:115]
	v_fma_f64 v[114:115], v[76:77], s[22:23], -v[114:115]
	v_mul_f64 v[126:127], v[78:79], s[34:35]
	v_add_f64 v[112:113], v[112:113], v[128:129]
	;; [unrolled: 5-line block ×4, first 2 shown]
	v_add_f64 v[130:131], v[130:131], v[138:139]
	v_fma_f64 v[136:137], s[18:19], v[76:77], v[134:135]
	v_fma_f64 v[134:135], v[76:77], s[18:19], -v[134:135]
	v_mul_f64 v[138:139], v[78:79], s[40:41]
	v_mul_f64 v[78:79], v[78:79], s[42:43]
	v_add_f64 v[132:133], v[132:133], v[140:141]
	v_add_f64 v[134:135], v[134:135], v[142:143]
	v_fma_f64 v[140:141], s[10:11], v[76:77], v[138:139]
	v_fma_f64 v[138:139], v[76:77], s[10:11], -v[138:139]
	v_fma_f64 v[142:143], s[6:7], v[76:77], v[78:79]
	v_fma_f64 v[76:77], v[76:77], s[6:7], -v[78:79]
	v_add_f64 v[66:67], v[66:67], -v[86:87]
	v_add_f64 v[74:75], v[76:77], v[74:75]
	v_add_f64 v[64:65], v[64:65], v[100:101]
	v_mul_f64 v[76:77], v[66:67], s[38:39]
	v_fma_f64 v[78:79], s[10:11], v[64:65], v[76:77]
	v_fma_f64 v[76:77], v[64:65], s[10:11], -v[76:77]
	v_mul_f64 v[86:87], v[66:67], s[20:21]
	v_add_f64 v[76:77], v[76:77], v[106:107]
	v_fma_f64 v[100:101], s[22:23], v[64:65], v[86:87]
	v_fma_f64 v[86:87], v[64:65], s[22:23], -v[86:87]
	v_mul_f64 v[106:107], v[66:67], s[54:55]
	v_add_f64 v[78:79], v[78:79], v[108:109]
	v_add_f64 v[86:87], v[86:87], v[110:111]
	v_fma_f64 v[108:109], s[36:37], v[64:65], v[106:107]
	v_fma_f64 v[106:107], v[64:65], s[36:37], -v[106:107]
	v_mul_f64 v[110:111], v[66:67], s[46:47]
	v_add_f64 v[100:101], v[100:101], v[112:113]
	v_add_f64 v[106:107], v[106:107], v[114:115]
	v_fma_f64 v[112:113], s[18:19], v[64:65], v[110:111]
	v_fma_f64 v[110:111], v[64:65], s[18:19], -v[110:111]
	v_mul_f64 v[114:115], v[66:67], s[44:45]
	v_add_f64 v[108:109], v[108:109], v[116:117]
	v_add_f64 v[110:111], v[110:111], v[126:127]
	v_fma_f64 v[116:117], s[8:9], v[64:65], v[114:115]
	v_fma_f64 v[114:115], v[64:65], s[8:9], -v[114:115]
	v_mul_f64 v[126:127], v[66:67], s[14:15]
	v_add_f64 v[112:113], v[112:113], v[128:129]
	v_add_f64 v[114:115], v[114:115], v[130:131]
	v_fma_f64 v[128:129], s[6:7], v[64:65], v[126:127]
	v_fma_f64 v[126:127], v[64:65], s[6:7], -v[126:127]
	v_mul_f64 v[130:131], v[66:67], s[26:27]
	v_mul_f64 v[66:67], v[66:67], s[28:29]
	v_add_f64 v[62:63], v[62:63], -v[68:69]
	v_add_f64 v[116:117], v[116:117], v[132:133]
	v_add_f64 v[126:127], v[126:127], v[134:135]
	v_fma_f64 v[132:133], s[12:13], v[64:65], v[130:131]
	v_fma_f64 v[130:131], v[64:65], s[12:13], -v[130:131]
	v_fma_f64 v[134:135], s[30:31], v[64:65], v[66:67]
	v_fma_f64 v[64:65], v[64:65], s[30:31], -v[66:67]
	v_add_f64 v[54:55], v[54:55], v[72:73]
	v_mul_f64 v[66:67], v[62:63], s[26:27]
	v_fma_f64 v[68:69], s[12:13], v[54:55], v[66:67]
	v_fma_f64 v[66:67], v[54:55], s[12:13], -v[66:67]
	v_mul_f64 v[72:73], v[62:63], s[34:35]
	v_add_f64 v[64:65], v[64:65], v[74:75]
	v_add_f64 v[66:67], v[66:67], v[76:77]
	v_fma_f64 v[74:75], s[36:37], v[54:55], v[72:73]
	v_fma_f64 v[72:73], v[54:55], s[36:37], -v[72:73]
	v_mul_f64 v[76:77], v[62:63], s[46:47]
	v_add_f64 v[68:69], v[68:69], v[78:79]
	v_add_f64 v[72:73], v[72:73], v[86:87]
	;; [unrolled: 5-line block ×4, first 2 shown]
	v_fma_f64 v[108:109], s[10:11], v[54:55], v[106:107]
	v_fma_f64 v[106:107], v[54:55], s[10:11], -v[106:107]
	v_mul_f64 v[110:111], v[62:63], s[28:29]
	v_add_f64 v[46:47], v[46:47], v[52:53]
	v_add_f64 v[52:53], v[58:59], -v[60:61]
	v_add_f64 v[100:101], v[100:101], v[112:113]
	v_add_f64 v[106:107], v[106:107], v[114:115]
	v_fma_f64 v[112:113], s[30:31], v[54:55], v[110:111]
	v_fma_f64 v[110:111], v[54:55], s[30:31], -v[110:111]
	v_mul_f64 v[114:115], v[62:63], s[52:53]
	v_mul_f64 v[62:63], v[62:63], s[44:45]
	v_mul_f64 v[58:59], v[52:53], s[16:17]
	v_add_f64 v[108:109], v[108:109], v[116:117]
	v_add_f64 v[110:111], v[110:111], v[126:127]
	v_fma_f64 v[116:117], s[22:23], v[54:55], v[114:115]
	v_fma_f64 v[114:115], v[54:55], s[22:23], -v[114:115]
	v_fma_f64 v[126:127], s[8:9], v[54:55], v[62:63]
	v_fma_f64 v[54:55], v[54:55], s[8:9], -v[62:63]
	v_fma_f64 v[60:61], s[18:19], v[46:47], v[58:59]
	v_fma_f64 v[58:59], v[46:47], s[18:19], -v[58:59]
	v_mul_f64 v[62:63], v[52:53], s[48:49]
	v_add_f64 v[54:55], v[54:55], v[64:65]
	v_add_f64 v[58:59], v[58:59], v[66:67]
	v_fma_f64 v[64:65], s[30:31], v[46:47], v[62:63]
	v_fma_f64 v[62:63], v[46:47], s[30:31], -v[62:63]
	v_mul_f64 v[66:67], v[52:53], s[44:45]
	v_add_f64 v[60:61], v[60:61], v[68:69]
	v_add_f64 v[62:63], v[62:63], v[72:73]
	v_fma_f64 v[68:69], s[8:9], v[46:47], v[66:67]
	v_fma_f64 v[66:67], v[46:47], s[8:9], -v[66:67]
	;; [unrolled: 5-line block ×4, first 2 shown]
	v_mul_f64 v[86:87], v[52:53], s[50:51]
	v_add_f64 v[32:33], v[32:33], v[38:39]
	v_add_f64 v[38:39], v[48:49], -v[50:51]
	v_add_f64 v[74:75], v[74:75], v[100:101]
	v_add_f64 v[76:77], v[76:77], v[106:107]
	v_fma_f64 v[100:101], s[12:13], v[46:47], v[86:87]
	v_fma_f64 v[86:87], v[46:47], s[12:13], -v[86:87]
	v_mul_f64 v[106:107], v[52:53], s[14:15]
	v_mul_f64 v[52:53], v[52:53], s[20:21]
	;; [unrolled: 1-line block ×3, first 2 shown]
	v_add_f64 v[78:79], v[78:79], v[108:109]
	v_add_f64 v[86:87], v[86:87], v[110:111]
	v_fma_f64 v[108:109], s[6:7], v[46:47], v[106:107]
	v_fma_f64 v[106:107], v[46:47], s[6:7], -v[106:107]
	v_fma_f64 v[110:111], s[22:23], v[46:47], v[52:53]
	v_fma_f64 v[46:47], v[46:47], s[22:23], -v[52:53]
	;; [unrolled: 2-line block ×3, first 2 shown]
	v_mul_f64 v[52:53], v[38:39], s[46:47]
	v_add_f64 v[46:47], v[46:47], v[54:55]
	v_add_f64 v[48:49], v[48:49], v[58:59]
	v_fma_f64 v[54:55], s[18:19], v[32:33], v[52:53]
	v_fma_f64 v[52:53], v[32:33], s[18:19], -v[52:53]
	v_mul_f64 v[58:59], v[38:39], s[14:15]
	v_add_f64 v[50:51], v[50:51], v[60:61]
	v_add_f64 v[52:53], v[52:53], v[62:63]
	v_fma_f64 v[60:61], s[6:7], v[32:33], v[58:59]
	v_fma_f64 v[58:59], v[32:33], s[6:7], -v[58:59]
	;; [unrolled: 5-line block ×5, first 2 shown]
	v_mul_f64 v[76:77], v[38:39], s[34:35]
	v_mul_f64 v[38:39], v[38:39], s[40:41]
	v_add_f64 v[26:27], v[26:27], v[30:31]
	v_add_f64 v[30:31], v[34:35], -v[36:37]
	v_add_f64 v[68:69], v[68:69], v[78:79]
	v_add_f64 v[72:73], v[72:73], v[86:87]
	v_fma_f64 v[78:79], s[36:37], v[32:33], v[76:77]
	v_fma_f64 v[76:77], v[32:33], s[36:37], -v[76:77]
	v_fma_f64 v[86:87], s[10:11], v[32:33], v[38:39]
	v_fma_f64 v[32:33], v[32:33], s[10:11], -v[38:39]
	v_mul_f64 v[34:35], v[30:31], s[28:29]
	v_mul_f64 v[38:39], v[30:31], s[40:41]
	v_add_f64 v[32:33], v[32:33], v[46:47]
	v_fma_f64 v[36:37], s[30:31], v[26:27], v[34:35]
	v_fma_f64 v[34:35], v[26:27], s[30:31], -v[34:35]
	v_fma_f64 v[46:47], s[10:11], v[26:27], v[38:39]
	v_add_f64 v[34:35], v[34:35], v[48:49]
	v_add_f64 v[48:49], v[46:47], v[54:55]
	v_mul_f64 v[46:47], v[30:31], s[26:27]
	v_add_f64 v[36:37], v[36:37], v[50:51]
	v_fma_f64 v[38:39], v[26:27], s[10:11], -v[38:39]
	v_fma_f64 v[50:51], s[12:13], v[26:27], v[46:47]
	v_fma_f64 v[46:47], v[26:27], s[12:13], -v[46:47]
	v_add_f64 v[38:39], v[38:39], v[52:53]
	v_add_f64 v[52:53], v[46:47], v[58:59]
	v_mul_f64 v[46:47], v[30:31], s[52:53]
	v_fma_f64 v[54:55], s[22:23], v[26:27], v[46:47]
	v_fma_f64 v[46:47], v[26:27], s[22:23], -v[46:47]
	v_add_f64 v[58:59], v[46:47], v[62:63]
	v_mul_f64 v[46:47], v[30:31], s[14:15]
	v_add_f64 v[138:139], v[138:139], v[146:147]
	v_add_f64 v[50:51], v[50:51], v[60:61]
	v_fma_f64 v[60:61], s[6:7], v[26:27], v[46:47]
	v_fma_f64 v[46:47], v[26:27], s[6:7], -v[46:47]
	v_add_f64 v[136:137], v[136:137], v[144:145]
	v_add_f64 v[142:143], v[142:143], v[150:151]
	;; [unrolled: 1-line block ×4, first 2 shown]
	v_mul_f64 v[46:47], v[30:31], s[34:35]
	v_add_f64 v[128:129], v[128:129], v[136:137]
	v_add_f64 v[134:135], v[134:135], v[142:143]
	;; [unrolled: 1-line block ×4, first 2 shown]
	v_fma_f64 v[64:65], s[36:37], v[26:27], v[46:47]
	v_fma_f64 v[46:47], v[26:27], s[36:37], -v[46:47]
	v_add_f64 v[112:113], v[112:113], v[128:129]
	v_add_f64 v[126:127], v[126:127], v[134:135]
	;; [unrolled: 1-line block ×4, first 2 shown]
	v_mul_f64 v[46:47], v[30:31], s[44:45]
	v_add_f64 v[20:21], v[20:21], v[22:23]
	v_add_f64 v[22:23], v[24:25], -v[28:29]
	v_add_f64 v[100:101], v[100:101], v[112:113]
	v_add_f64 v[110:111], v[110:111], v[126:127]
	;; [unrolled: 1-line block ×4, first 2 shown]
	v_fma_f64 v[68:69], s[8:9], v[26:27], v[46:47]
	v_fma_f64 v[46:47], v[26:27], s[8:9], -v[46:47]
	v_mul_f64 v[30:31], v[30:31], s[16:17]
	v_mul_f64 v[24:25], v[22:23], s[34:35]
	v_add_f64 v[74:75], v[74:75], v[100:101]
	v_add_f64 v[86:87], v[86:87], v[110:111]
	;; [unrolled: 1-line block ×3, first 2 shown]
	v_fma_f64 v[46:47], s[18:19], v[26:27], v[30:31]
	v_fma_f64 v[28:29], s[36:37], v[20:21], v[24:25]
	v_fma_f64 v[24:25], v[20:21], s[36:37], -v[24:25]
	v_add_f64 v[140:141], v[140:141], v[148:149]
	v_add_f64 v[64:65], v[64:65], v[74:75]
	;; [unrolled: 1-line block ×3, first 2 shown]
	v_fma_f64 v[26:27], v[26:27], s[18:19], -v[30:31]
	v_add_f64 v[46:47], v[24:25], v[34:35]
	v_mul_f64 v[24:25], v[22:23], s[42:43]
	v_add_f64 v[132:133], v[132:133], v[140:141]
	v_add_f64 v[26:27], v[26:27], v[32:33]
	;; [unrolled: 1-line block ×3, first 2 shown]
	v_fma_f64 v[30:31], s[6:7], v[20:21], v[24:25]
	v_fma_f64 v[24:25], v[20:21], s[6:7], -v[24:25]
	v_mul_f64 v[32:33], v[22:23], s[28:29]
	v_mul_f64 v[36:37], v[22:23], s[44:45]
	v_add_f64 v[116:117], v[116:117], v[132:133]
	v_add_f64 v[30:31], v[30:31], v[48:49]
	;; [unrolled: 1-line block ×3, first 2 shown]
	v_fma_f64 v[34:35], s[30:31], v[20:21], v[32:33]
	v_fma_f64 v[32:33], v[20:21], s[30:31], -v[32:33]
	v_fma_f64 v[38:39], s[8:9], v[20:21], v[36:37]
	v_fma_f64 v[36:37], v[20:21], s[8:9], -v[36:37]
	v_mul_f64 v[48:49], v[22:23], s[20:21]
	v_add_f64 v[108:109], v[108:109], v[116:117]
	v_add_f64 v[34:35], v[34:35], v[50:51]
	;; [unrolled: 1-line block ×4, first 2 shown]
	v_fma_f64 v[50:51], s[22:23], v[20:21], v[48:49]
	v_fma_f64 v[48:49], v[20:21], s[22:23], -v[48:49]
	v_mul_f64 v[52:53], v[22:23], s[40:41]
	v_mul_f64 v[58:59], v[22:23], s[16:17]
	;; [unrolled: 1-line block ×3, first 2 shown]
	v_add_f64 v[78:79], v[78:79], v[108:109]
	v_add_f64 v[38:39], v[38:39], v[54:55]
	;; [unrolled: 1-line block ×4, first 2 shown]
	v_fma_f64 v[54:55], s[10:11], v[20:21], v[52:53]
	v_fma_f64 v[52:53], v[20:21], s[10:11], -v[52:53]
	v_fma_f64 v[60:61], s[18:19], v[20:21], v[58:59]
	v_fma_f64 v[58:59], v[20:21], s[18:19], -v[58:59]
	;; [unrolled: 2-line block ×3, first 2 shown]
	v_add_f64 v[68:69], v[68:69], v[78:79]
	v_add_f64 v[20:21], v[20:21], v[26:27]
	;; [unrolled: 1-line block ×7, first 2 shown]
	s_waitcnt lgkmcnt(0)
	s_barrier
	ds_write2_b64 v120, v[118:119], v[28:29] offset1:34
	ds_write2_b64 v120, v[30:31], v[34:35] offset0:68 offset1:102
	ds_write2_b64 v120, v[38:39], v[50:51] offset0:136 offset1:170
	;; [unrolled: 1-line block ×7, first 2 shown]
	ds_write_b64 v120, v[46:47] offset:4352
	v_add_u32_e32 v20, 0x1000, v91
	v_add_u32_e32 v32, 0x1800, v91
	s_waitcnt lgkmcnt(0)
	s_barrier
	ds_read2_b64 v[20:23], v20 offset0:66 offset1:134
	ds_read2_b64 v[24:27], v91 offset0:68 offset1:136
	ds_read2_b64 v[28:31], v123 offset0:74 offset1:142
	ds_read2_b64 v[32:35], v32 offset0:82 offset1:150
	ds_read_b64 v[48:49], v93
	ds_read_b64 v[50:51], v91 offset:1632
	ds_read_b64 v[52:53], v95
	ds_read_b64 v[54:55], v97
	ds_read2_b64 v[36:39], v43 offset0:90 offset1:158
	ds_read_b64 v[58:59], v99
	ds_read_b64 v[60:61], v122
	s_and_saveexec_b64 s[6:7], s[2:3]
	s_cbranch_execz .LBB0_22
; %bb.21:
	ds_read_b64 v[46:47], v91 offset:4352
	ds_read_b64 v[40:41], v91 offset:8976
	v_mov_b32_e32 v42, v124
.LBB0_22:
	s_or_b64 exec, exec, s[6:7]
	s_and_saveexec_b64 s[6:7], s[0:1]
	s_cbranch_execz .LBB0_25
; %bb.23:
	v_mov_b32_e32 v93, 0
	v_lshl_add_u64 v[62:63], v[92:93], 4, s[4:5]
	v_add_co_u32_e32 v72, vcc, 0x2000, v62
	v_mov_b32_e32 v99, v93
	s_movk_i32 s0, 0x2000
	v_addc_co_u32_e32 v73, vcc, 0, v63, vcc
	v_lshl_add_u64 v[62:63], v[98:99], 4, s[4:5]
	v_add_co_u32_e32 v74, vcc, s0, v62
	v_mov_b32_e32 v97, v93
	s_nop 0
	v_addc_co_u32_e32 v75, vcc, 0, v63, vcc
	global_load_dwordx4 v[62:65], v[72:73], off offset:784
	global_load_dwordx4 v[66:69], v[74:75], off offset:784
	v_lshl_add_u64 v[72:73], v[96:97], 4, s[4:5]
	v_add_co_u32_e32 v72, vcc, s0, v72
	v_mov_b32_e32 v95, v93
	s_nop 0
	v_addc_co_u32_e32 v73, vcc, 0, v73, vcc
	v_lshl_add_u64 v[76:77], v[94:95], 4, s[4:5]
	v_add_co_u32_e32 v76, vcc, s0, v76
	v_mov_b32_e32 v91, v93
	s_nop 0
	v_addc_co_u32_e32 v77, vcc, 0, v77, vcc
	v_lshlrev_b64 v[86:87], 4, v[90:91]
	global_load_dwordx4 v[72:75], v[72:73], off offset:784
	v_lshl_add_u64 v[94:95], s[4:5], 0, v[86:87]
	global_load_dwordx4 v[76:79], v[76:77], off offset:784
	v_add_co_u32_e32 v114, vcc, s0, v94
	s_movk_i32 s1, 0x3000
	s_nop 0
	v_addc_co_u32_e32 v115, vcc, 0, v95, vcc
	global_load_dwordx4 v[94:97], v[114:115], off offset:4048
	global_load_dwordx4 v[98:101], v[114:115], off offset:2960
	;; [unrolled: 1-line block ×4, first 2 shown]
	s_movk_i32 s6, 0x242
	s_waitcnt vmcnt(7)
	v_mul_f64 v[114:115], v[18:19], v[64:65]
	s_waitcnt lgkmcnt(2)
	v_mul_f64 v[64:65], v[38:39], v[64:65]
	s_waitcnt vmcnt(6)
	v_mul_f64 v[116:117], v[16:17], v[68:69]
	v_mul_f64 v[68:69], v[36:37], v[68:69]
	v_fmac_f64_e32 v[114:115], v[38:39], v[62:63]
	v_fma_f64 v[18:19], v[18:19], v[62:63], -v[64:65]
	v_fmac_f64_e32 v[116:117], v[36:37], v[66:67]
	v_fma_f64 v[16:17], v[16:17], v[66:67], -v[68:69]
	v_add_f64 v[16:17], v[102:103], -v[16:17]
	s_waitcnt vmcnt(5)
	v_mul_f64 v[118:119], v[14:15], v[74:75]
	v_mul_f64 v[74:75], v[34:35], v[74:75]
	s_waitcnt vmcnt(4)
	v_mul_f64 v[120:121], v[12:13], v[78:79]
	v_mul_f64 v[78:79], v[32:33], v[78:79]
	v_fmac_f64_e32 v[118:119], v[34:35], v[72:73]
	v_fma_f64 v[36:37], v[14:15], v[72:73], -v[74:75]
	v_fma_f64 v[62:63], v[12:13], v[76:77], -v[78:79]
	s_waitcnt vmcnt(3)
	v_mul_f64 v[66:67], v[30:31], v[96:97]
	s_waitcnt vmcnt(2)
	v_mul_f64 v[72:73], v[28:29], v[100:101]
	v_fmac_f64_e32 v[120:121], v[32:33], v[76:77]
	v_add_f64 v[32:33], v[84:85], -v[36:37]
	v_add_f64 v[36:37], v[82:83], -v[62:63]
	v_fma_f64 v[62:63], v[10:11], v[94:95], -v[66:67]
	v_fma_f64 v[66:67], v[8:9], v[98:99], -v[72:73]
	v_mul_f64 v[68:69], v[8:9], v[100:101]
	v_add_f64 v[66:67], v[6:7], -v[66:67]
	v_fmac_f64_e32 v[68:69], v[28:29], v[98:99]
	v_fma_f64 v[76:77], v[6:7], 2.0, -v[66:67]
	s_waitcnt vmcnt(1)
	v_mul_f64 v[6:7], v[2:3], v[108:109]
	v_add_f64 v[68:69], v[26:27], -v[68:69]
	v_fmac_f64_e32 v[6:7], v[22:23], v[106:107]
	v_mul_f64 v[22:23], v[22:23], v[108:109]
	v_fma_f64 v[78:79], v[26:27], 2.0, -v[68:69]
	v_add_f64 v[26:27], v[24:25], -v[6:7]
	v_fma_f64 v[2:3], v[2:3], v[106:107], -v[22:23]
	v_fma_f64 v[6:7], v[24:25], 2.0, -v[26:27]
	v_add_f64 v[24:25], v[4:5], -v[2:3]
	s_waitcnt vmcnt(0)
	v_mul_f64 v[2:3], v[0:1], v[112:113]
	v_fmac_f64_e32 v[2:3], v[20:21], v[110:111]
	v_add_f64 v[22:23], v[48:49], -v[2:3]
	v_mul_f64 v[2:3], v[20:21], v[112:113]
	v_mul_f64 v[64:65], v[10:11], v[96:97]
	v_fma_f64 v[0:1], v[0:1], v[110:111], -v[2:3]
	v_fmac_f64_e32 v[64:65], v[30:31], v[94:95]
	v_add_f64 v[20:21], v[70:71], -v[0:1]
	v_lshl_add_u64 v[0:1], v[88:89], 0, v[86:87]
	v_add_f64 v[64:65], v[50:51], -v[64:65]
	v_add_co_u32_e32 v2, vcc, s0, v0
	v_add_f64 v[62:63], v[80:81], -v[62:63]
	v_fma_f64 v[74:75], v[50:51], 2.0, -v[64:65]
	v_fma_f64 v[50:51], v[48:49], 2.0, -v[22:23]
	;; [unrolled: 1-line block ×3, first 2 shown]
	v_addc_co_u32_e32 v3, vcc, 0, v1, vcc
	v_fma_f64 v[72:73], v[80:81], 2.0, -v[62:63]
	v_fma_f64 v[4:5], v[4:5], 2.0, -v[24:25]
	global_store_dwordx4 v[0:1], v[48:51], off
	global_store_dwordx4 v[2:3], v[20:23], off offset:1056
	global_store_dwordx4 v[0:1], v[4:7], off offset:1088
	;; [unrolled: 1-line block ×6, first 2 shown]
	v_add_co_u32_e32 v2, vcc, s1, v0
	s_movk_i32 s1, 0x1000
	s_nop 0
	v_addc_co_u32_e32 v3, vcc, 0, v1, vcc
	s_waitcnt lgkmcnt(0)
	v_add_f64 v[14:15], v[60:61], -v[114:115]
	v_add_f64 v[34:35], v[54:55], -v[118:119]
	;; [unrolled: 1-line block ×3, first 2 shown]
	v_add_co_u32_e32 v4, vcc, s1, v0
	v_add_f64 v[12:13], v[104:105], -v[18:19]
	v_add_f64 v[18:19], v[58:59], -v[116:117]
	v_fma_f64 v[10:11], v[60:61], 2.0, -v[14:15]
	v_fma_f64 v[60:61], v[54:55], 2.0, -v[34:35]
	;; [unrolled: 1-line block ×4, first 2 shown]
	v_addc_co_u32_e32 v5, vcc, 0, v1, vcc
	v_fma_f64 v[30:31], v[58:59], 2.0, -v[18:19]
	v_fma_f64 v[58:59], v[84:85], 2.0, -v[32:33]
	global_store_dwordx4 v[2:3], v[62:65], off offset:224
	global_store_dwordx4 v[4:5], v[52:55], off offset:256
	;; [unrolled: 1-line block ×5, first 2 shown]
	v_add_u32_e32 v2, 0x198, v90
	s_mov_b32 s1, 0xe2c4a689
	v_mul_hi_u32 v3, v2, s1
	v_lshrrev_b32_e32 v3, 9, v3
	v_mad_u32_u24 v92, v3, s6, v2
	v_fma_f64 v[28:29], v[102:103], 2.0, -v[16:17]
	v_lshl_add_u64 v[2:3], v[92:93], 4, v[88:89]
	global_store_dwordx4 v[2:3], v[28:31], off
	v_add_co_u32_e32 v2, vcc, s0, v2
	v_fma_f64 v[8:9], v[104:105], 2.0, -v[12:13]
	s_nop 0
	v_addc_co_u32_e32 v3, vcc, 0, v3, vcc
	global_store_dwordx4 v[2:3], v[16:19], off offset:1056
	v_add_u32_e32 v2, 0x1dc, v90
	v_mul_hi_u32 v3, v2, s1
	v_lshrrev_b32_e32 v3, 9, v3
	v_mad_u32_u24 v92, v3, s6, v2
	v_lshl_add_u64 v[2:3], v[92:93], 4, v[88:89]
	global_store_dwordx4 v[2:3], v[8:11], off
	v_add_co_u32_e32 v2, vcc, 0x2000, v2
	s_nop 1
	v_addc_co_u32_e32 v3, vcc, 0, v3, vcc
	global_store_dwordx4 v[2:3], v[12:15], off offset:1056
	s_and_b64 exec, exec, s[2:3]
	s_cbranch_execz .LBB0_25
; %bb.24:
	v_mov_b32_e32 v43, v93
	v_lshl_add_u64 v[2:3], v[42:43], 4, s[4:5]
	v_add_co_u32_e32 v2, vcc, 0x2000, v2
	s_nop 1
	v_addc_co_u32_e32 v3, vcc, 0, v3, vcc
	global_load_dwordx4 v[2:5], v[2:3], off offset:784
	v_add_co_u32_e32 v8, vcc, 0x2000, v0
	s_nop 1
	v_addc_co_u32_e32 v9, vcc, 0, v1, vcc
	v_add_co_u32_e32 v10, vcc, 0x4000, v0
	s_nop 1
	v_addc_co_u32_e32 v11, vcc, 0, v1, vcc
	s_waitcnt vmcnt(0)
	v_mul_f64 v[0:1], v[40:41], v[4:5]
	v_mul_f64 v[4:5], v[56:57], v[4:5]
	v_fma_f64 v[0:1], v[56:57], v[2:3], -v[0:1]
	v_fmac_f64_e32 v[4:5], v[40:41], v[2:3]
	v_add_f64 v[0:1], v[44:45], -v[0:1]
	v_add_f64 v[2:3], v[46:47], -v[4:5]
	v_fma_f64 v[4:5], v[44:45], 2.0, -v[0:1]
	v_fma_f64 v[6:7], v[46:47], 2.0, -v[2:3]
	global_store_dwordx4 v[8:9], v[4:7], off offset:512
	global_store_dwordx4 v[10:11], v[0:3], off offset:1568
.LBB0_25:
	s_endpgm
	.section	.rodata,"a",@progbits
	.p2align	6, 0x0
	.amdhsa_kernel fft_rtc_fwd_len1156_factors_17_2_17_2_wgs_204_tpt_68_halfLds_dp_ip_CI_unitstride_sbrr_dirReg
		.amdhsa_group_segment_fixed_size 0
		.amdhsa_private_segment_fixed_size 0
		.amdhsa_kernarg_size 88
		.amdhsa_user_sgpr_count 2
		.amdhsa_user_sgpr_dispatch_ptr 0
		.amdhsa_user_sgpr_queue_ptr 0
		.amdhsa_user_sgpr_kernarg_segment_ptr 1
		.amdhsa_user_sgpr_dispatch_id 0
		.amdhsa_user_sgpr_kernarg_preload_length 0
		.amdhsa_user_sgpr_kernarg_preload_offset 0
		.amdhsa_user_sgpr_private_segment_size 0
		.amdhsa_uses_dynamic_stack 0
		.amdhsa_enable_private_segment 0
		.amdhsa_system_sgpr_workgroup_id_x 1
		.amdhsa_system_sgpr_workgroup_id_y 0
		.amdhsa_system_sgpr_workgroup_id_z 0
		.amdhsa_system_sgpr_workgroup_info 0
		.amdhsa_system_vgpr_workitem_id 0
		.amdhsa_next_free_vgpr 174
		.amdhsa_next_free_sgpr 58
		.amdhsa_accum_offset 176
		.amdhsa_reserve_vcc 1
		.amdhsa_float_round_mode_32 0
		.amdhsa_float_round_mode_16_64 0
		.amdhsa_float_denorm_mode_32 3
		.amdhsa_float_denorm_mode_16_64 3
		.amdhsa_dx10_clamp 1
		.amdhsa_ieee_mode 1
		.amdhsa_fp16_overflow 0
		.amdhsa_tg_split 0
		.amdhsa_exception_fp_ieee_invalid_op 0
		.amdhsa_exception_fp_denorm_src 0
		.amdhsa_exception_fp_ieee_div_zero 0
		.amdhsa_exception_fp_ieee_overflow 0
		.amdhsa_exception_fp_ieee_underflow 0
		.amdhsa_exception_fp_ieee_inexact 0
		.amdhsa_exception_int_div_zero 0
	.end_amdhsa_kernel
	.text
.Lfunc_end0:
	.size	fft_rtc_fwd_len1156_factors_17_2_17_2_wgs_204_tpt_68_halfLds_dp_ip_CI_unitstride_sbrr_dirReg, .Lfunc_end0-fft_rtc_fwd_len1156_factors_17_2_17_2_wgs_204_tpt_68_halfLds_dp_ip_CI_unitstride_sbrr_dirReg
                                        ; -- End function
	.section	.AMDGPU.csdata,"",@progbits
; Kernel info:
; codeLenInByte = 17368
; NumSgprs: 64
; NumVgprs: 174
; NumAgprs: 0
; TotalNumVgprs: 174
; ScratchSize: 0
; MemoryBound: 1
; FloatMode: 240
; IeeeMode: 1
; LDSByteSize: 0 bytes/workgroup (compile time only)
; SGPRBlocks: 7
; VGPRBlocks: 21
; NumSGPRsForWavesPerEU: 64
; NumVGPRsForWavesPerEU: 174
; AccumOffset: 176
; Occupancy: 2
; WaveLimiterHint : 1
; COMPUTE_PGM_RSRC2:SCRATCH_EN: 0
; COMPUTE_PGM_RSRC2:USER_SGPR: 2
; COMPUTE_PGM_RSRC2:TRAP_HANDLER: 0
; COMPUTE_PGM_RSRC2:TGID_X_EN: 1
; COMPUTE_PGM_RSRC2:TGID_Y_EN: 0
; COMPUTE_PGM_RSRC2:TGID_Z_EN: 0
; COMPUTE_PGM_RSRC2:TIDIG_COMP_CNT: 0
; COMPUTE_PGM_RSRC3_GFX90A:ACCUM_OFFSET: 43
; COMPUTE_PGM_RSRC3_GFX90A:TG_SPLIT: 0
	.text
	.p2alignl 6, 3212836864
	.fill 256, 4, 3212836864
	.type	__hip_cuid_2381636f9e206896,@object ; @__hip_cuid_2381636f9e206896
	.section	.bss,"aw",@nobits
	.globl	__hip_cuid_2381636f9e206896
__hip_cuid_2381636f9e206896:
	.byte	0                               ; 0x0
	.size	__hip_cuid_2381636f9e206896, 1

	.ident	"AMD clang version 19.0.0git (https://github.com/RadeonOpenCompute/llvm-project roc-6.4.0 25133 c7fe45cf4b819c5991fe208aaa96edf142730f1d)"
	.section	".note.GNU-stack","",@progbits
	.addrsig
	.addrsig_sym __hip_cuid_2381636f9e206896
	.amdgpu_metadata
---
amdhsa.kernels:
  - .agpr_count:     0
    .args:
      - .actual_access:  read_only
        .address_space:  global
        .offset:         0
        .size:           8
        .value_kind:     global_buffer
      - .offset:         8
        .size:           8
        .value_kind:     by_value
      - .actual_access:  read_only
        .address_space:  global
        .offset:         16
        .size:           8
        .value_kind:     global_buffer
      - .actual_access:  read_only
        .address_space:  global
        .offset:         24
        .size:           8
        .value_kind:     global_buffer
      - .offset:         32
        .size:           8
        .value_kind:     by_value
      - .actual_access:  read_only
        .address_space:  global
        .offset:         40
        .size:           8
        .value_kind:     global_buffer
      - .actual_access:  read_only
        .address_space:  global
        .offset:         48
        .size:           8
        .value_kind:     global_buffer
      - .offset:         56
        .size:           4
        .value_kind:     by_value
      - .actual_access:  read_only
        .address_space:  global
        .offset:         64
        .size:           8
        .value_kind:     global_buffer
      - .actual_access:  read_only
        .address_space:  global
        .offset:         72
        .size:           8
        .value_kind:     global_buffer
      - .address_space:  global
        .offset:         80
        .size:           8
        .value_kind:     global_buffer
    .group_segment_fixed_size: 0
    .kernarg_segment_align: 8
    .kernarg_segment_size: 88
    .language:       OpenCL C
    .language_version:
      - 2
      - 0
    .max_flat_workgroup_size: 204
    .name:           fft_rtc_fwd_len1156_factors_17_2_17_2_wgs_204_tpt_68_halfLds_dp_ip_CI_unitstride_sbrr_dirReg
    .private_segment_fixed_size: 0
    .sgpr_count:     64
    .sgpr_spill_count: 0
    .symbol:         fft_rtc_fwd_len1156_factors_17_2_17_2_wgs_204_tpt_68_halfLds_dp_ip_CI_unitstride_sbrr_dirReg.kd
    .uniform_work_group_size: 1
    .uses_dynamic_stack: false
    .vgpr_count:     174
    .vgpr_spill_count: 0
    .wavefront_size: 64
amdhsa.target:   amdgcn-amd-amdhsa--gfx950
amdhsa.version:
  - 1
  - 2
...

	.end_amdgpu_metadata
